;; amdgpu-corpus repo=ROCm/rccl kind=compiled arch=gfx1250 opt=O3
	.amdgcn_target "amdgcn-amd-amdhsa--gfx1250"
	.amdhsa_code_object_version 6
	.text
	.p2align	2                               ; -- Begin function _ZN12_GLOBAL__N_17runRingI14__hip_fp8_e5m210FuncMinMaxIS1_E7ProtoLLLi0ELi1ELi0EEEviiP15ncclDevWorkColl
	.type	_ZN12_GLOBAL__N_17runRingI14__hip_fp8_e5m210FuncMinMaxIS1_E7ProtoLLLi0ELi1ELi0EEEviiP15ncclDevWorkColl,@function
_ZN12_GLOBAL__N_17runRingI14__hip_fp8_e5m210FuncMinMaxIS1_E7ProtoLLLi0ELi1ELi0EEEviiP15ncclDevWorkColl: ; @_ZN12_GLOBAL__N_17runRingI14__hip_fp8_e5m210FuncMinMaxIS1_E7ProtoLLLi0ELi1ELi0EEEviiP15ncclDevWorkColl
; %bb.0:
	s_wait_loadcnt_dscnt 0x0
	s_wait_kmcnt 0x0
	s_clause 0x17
	scratch_store_b32 off, v40, s32 offset:92
	; meta instruction
	scratch_store_b32 off, v41, s32 offset:88
	; meta instruction
	;; [unrolled: 2-line block ×23, first 2 shown]
	scratch_store_b32 off, v79, s32
	s_trap 2
	s_clause 0x2
	flat_load_b32 v12, v[2:3]
	flat_load_b128 v[4:7], v[2:3] offset:72
	flat_load_b64 v[68:69], v[2:3] offset:88
	v_mov_b32_e32 v20, v1
	ds_load_b32 v8, v0
	ds_load_b64 v[22:23], v0
	s_mov_b32 s0, exec_lo
                                        ; implicit-def: $vgpr54_vgpr55
                                        ; implicit-def: $vgpr24_vgpr25
	s_wait_dscnt 0x1
	v_readfirstlane_b32 s10, v8
	s_wait_loadcnt 0x2
	v_bfe_u32 v9, v12, 8, 8
	v_bitop3_b32 v1, v12, 0xff, v12 bitop3:0x3f
	s_delay_alu instid0(VALU_DEP_1) | instskip(NEXT) | instid1(VALU_DEP_1)
	v_add_nc_u32_e32 v10, v9, v1
	v_ashrrev_i32_e32 v11, 31, v10
	s_wait_loadcnt 0x1
	s_delay_alu instid0(VALU_DEP_1) | instskip(SKIP_2) | instid1(VALU_DEP_1)
	v_mul_u64_e32 v[18:19], v[6:7], v[10:11]
	v_and_b32_e32 v10, 0xff, v12
	s_wait_xcnt 0x0
	v_cmpx_ne_u32_e64 v8, v10
	s_xor_b32 s0, exec_lo, s0
	s_cbranch_execz .LBB0_6
; %bb.1:
	s_mov_b32 s1, exec_lo
                                        ; implicit-def: $vgpr54_vgpr55
                                        ; implicit-def: $vgpr24_vgpr25
	v_cmpx_ne_u32_e64 v8, v9
	s_xor_b32 s1, exec_lo, s1
	s_cbranch_execz .LBB0_3
; %bb.2:
	flat_load_b64 v[10:11], v[2:3] offset:96
	v_add_nc_u32_e32 v1, v8, v1
	s_delay_alu instid0(VALU_DEP_1) | instskip(NEXT) | instid1(VALU_DEP_1)
	v_mad_nc_u64_u32 v[24:25], v6, v1, v[4:5]
	v_mad_u32 v8, v7, v1, v25
	v_ashrrev_i32_e32 v1, 31, v1
	s_delay_alu instid0(VALU_DEP_1)
	v_mad_u32 v25, v6, v1, v8
	s_wait_loadcnt_dscnt 0x0
	v_lshrrev_b64 v[54:55], 17, v[10:11]
.LBB0_3:
	s_wait_xcnt 0x0
	s_and_not1_saveexec_b32 s1, s1
	s_cbranch_execz .LBB0_5
; %bb.4:
	flat_load_b32 v1, v[2:3] offset:100
	v_add_nc_u64_e32 v[24:25], v[18:19], v[4:5]
	s_wait_loadcnt 0x1
	v_mov_b64_e32 v[6:7], v[68:69]
	s_wait_loadcnt_dscnt 0x0
	v_lshrrev_b32_e32 v54, 6, v1
.LBB0_5:
	s_wait_xcnt 0x0
	s_or_b32 exec_lo, exec_lo, s1
.LBB0_6:
	s_and_not1_saveexec_b32 s0, s0
	s_cbranch_execz .LBB0_8
; %bb.7:
	flat_load_b64 v[6:7], v[2:3] offset:96
	v_mov_b64_e32 v[24:25], 0
	s_wait_loadcnt_dscnt 0x0
	v_lshlrev_b64_e32 v[54:55], 4, v[6:7]
	v_mov_b64_e32 v[6:7], v[4:5]
.LBB0_8:
	s_wait_xcnt 0x0
	s_or_b32 exec_lo, exec_lo, s0
	s_load_b32 s0, s[8:9], 0x0
	s_clause 0x2
	flat_load_b64 v[86:87], v[2:3] offset:104
	flat_load_u16 v13, v[2:3] offset:8
	flat_load_b32 v12, v[2:3] offset:4
	s_bfe_u32 s1, ttmp6, 0x4000c
	s_and_b32 s2, ttmp6, 15
	s_add_co_i32 s1, s1, 1
	s_getreg_b32 s3, hwreg(HW_REG_IB_STS2, 6, 4)
	s_mul_i32 s1, ttmp9, s1
	v_mov_b32_e32 v14, 0
	s_add_co_i32 s2, s2, s1
	s_cmp_eq_u32 s3, 0
	s_mov_b32 s1, 0
	s_cselect_b32 s2, ttmp9, s2
	v_mov_b64_e32 v[26:27], 0
	s_wait_kmcnt 0x0
	s_cmp_lt_u32 s2, s0
	s_cselect_b32 s0, 12, 18
	s_delay_alu instid0(SALU_CYCLE_1)
	s_add_nc_u64 s[2:3], s[8:9], s[0:1]
	flat_load_b128 v[8:11], v[2:3] offset:16
	global_load_u16 v1, v14, s[2:3]
	s_trap 2
	s_wait_xcnt 0x1
	ds_load_b32 v2, v0
	s_wait_dscnt 0x0
	v_cmp_gt_i32_e32 vcc_lo, 0, v2
	s_wait_xcnt 0x0
	v_readfirstlane_b32 s2, v2
	s_and_b32 vcc_lo, exec_lo, vcc_lo
	s_wait_loadcnt 0x2
	v_lshrrev_b64 v[14:15], 31, v[12:13]
	v_and_b32_e32 v12, 31, v0
	s_delay_alu instid0(VALU_DEP_1) | instskip(NEXT) | instid1(VALU_DEP_3)
	v_cmp_eq_u32_e64 s0, 0, v12
	v_and_b32_e32 v3, 3, v14
	s_delay_alu instid0(VALU_DEP_1)
	v_and_b32_e32 v13, 0xffff, v3
	s_cbranch_vccnz .LBB0_10
; %bb.9:
	s_trap 2
	ds_load_b64 v[14:15], v0
	s_mov_b32 s1, 1
	s_wait_dscnt 0x0
	v_readfirstlane_b32 s4, v14
	v_readfirstlane_b32 s5, v15
	flat_load_b64 v[2:3], v2, s[4:5] scale_offset
	s_wait_loadcnt_dscnt 0x0
	v_mad_nc_u64_u32 v[2:3], 0xa8, v13, v[2:3]
	s_clause 0x1
	flat_load_b64 v[32:33], v[2:3] offset:504
	flat_load_b64 v[34:35], v[2:3] offset:608
	v_add_nc_u64_e32 v[28:29], 0x1f8, v[2:3]
	s_wait_xcnt 0x0
	s_delay_alu instid0(VALU_DEP_1)
	v_dual_cndmask_b32 v3, 0, v29, s0 :: v_dual_cndmask_b32 v2, 0, v28, s0
	s_branch .LBB0_11
.LBB0_10:
	v_mov_b64_e32 v[28:29], 0
	v_mov_b64_e32 v[2:3], 0
                                        ; implicit-def: $vgpr34_vgpr35
                                        ; implicit-def: $vgpr32_vgpr33
.LBB0_11:
	s_trap 2
	ds_load_b32 v14, v0
	s_wait_dscnt 0x0
	v_cmp_gt_i32_e32 vcc_lo, 0, v14
	s_cbranch_vccnz .LBB0_13
; %bb.12:
	s_trap 2
	ds_load_b64 v[16:17], v0
	v_cmp_eq_u32_e32 vcc_lo, 0, v12
	s_wait_dscnt 0x0
	v_readfirstlane_b32 s4, v16
	v_readfirstlane_b32 s5, v17
	flat_load_b64 v[14:15], v14, s[4:5] scale_offset
	s_wait_loadcnt_dscnt 0x0
	v_mad_nc_u64_u32 v[26:27], 0xa8, v13, v[14:15]
	s_clause 0x1
	flat_load_b64 v[36:37], v[26:27]
	flat_load_b64 v[16:17], v[26:27] offset:104
	v_dual_cndmask_b32 v53, 0, v27 :: v_dual_cndmask_b32 v52, 0, v26
	s_branch .LBB0_14
.LBB0_13:
	v_mov_b64_e32 v[52:53], 0
                                        ; implicit-def: $vgpr16_vgpr17
                                        ; implicit-def: $vgpr36_vgpr37
.LBB0_14:
	s_wait_xcnt 0x2
	v_subrev_nc_u32_e32 v14, 32, v20
	v_cmp_gt_u32_e32 vcc_lo, s1, v12
	v_mov_b64_e32 v[12:13], 0
	v_mov_b64_e32 v[48:49], 0
                                        ; implicit-def: $vgpr38_vgpr39
	s_delay_alu instid0(VALU_DEP_4)
	v_cmp_ge_i32_e64 s0, v0, v14
	s_and_b32 s14, s0, vcc_lo
	s_wait_xcnt 0x0
	s_and_saveexec_b32 s0, s14
	s_cbranch_execz .LBB0_16
; %bb.15:
	s_clause 0x1
	flat_load_b64 v[48:49], v[2:3] offset:56
	flat_load_b64 v[38:39], v[2:3] offset:104
.LBB0_16:
	s_wait_xcnt 0x0
	s_or_b32 exec_lo, exec_lo, s0
	v_mov_b64_e32 v[50:51], 0
	v_cmp_gt_u32_e64 s0, s1, v0
                                        ; implicit-def: $vgpr64_vgpr65
	s_and_saveexec_b32 s1, s0
	s_cbranch_execz .LBB0_18
; %bb.17:
	flat_load_b64 v[50:51], v[52:53] offset:56
	s_wait_loadcnt_dscnt 0x0
	flat_load_b64 v[64:65], v[50:51] scope:SCOPE_SYS
	s_wait_loadcnt 0x0
	flat_load_b128 v[12:15], v[52:53] offset:96
.LBB0_18:
	s_wait_xcnt 0x0
	s_or_b32 exec_lo, exec_lo, s1
	v_mov_b64_e32 v[52:53], 0
	s_wait_loadcnt 0x0
	v_and_b32_e32 v56, 0xffff, v1
	s_mov_b32 s15, exec_lo
	v_cmpx_ne_u64_e32 0, v[6:7]
	s_cbranch_execnz .LBB0_34
; %bb.19:
	s_or_b32 exec_lo, exec_lo, s15
	s_and_saveexec_b32 s1, s14
	s_cbranch_execnz .LBB0_1248
.LBB0_20:
	s_or_b32 exec_lo, exec_lo, s1
	s_and_saveexec_b32 s1, s0
	s_cbranch_execz .LBB0_22
.LBB0_21:
	s_wait_dscnt 0x0
	flat_store_b64 v[26:27], v[14:15] offset:104
.LBB0_22:
	s_wait_xcnt 0x0
	s_or_b32 exec_lo, exec_lo, s1
	s_delay_alu instid0(SALU_CYCLE_1)
	s_mov_b32 s0, exec_lo
	v_cmpx_ne_u32_e32 32, v20
	s_cbranch_execz .LBB0_1255
; %bb.23:
	s_mov_b32 s1, exec_lo
	v_cmpx_ne_u32_e64 v20, v56
	s_xor_b32 s1, exec_lo, s1
	s_cbranch_execz .LBB0_1253
; %bb.24:
	v_and_b32_e32 v0, 31, v31
	s_mov_b32 s2, exec_lo
	s_delay_alu instid0(VALU_DEP_1)
	v_cmpx_eq_u32_e32 0, v0
	s_cbranch_execz .LBB0_1252
; %bb.25:
	s_mov_b32 s4, exec_lo
	s_mov_b32 s3, exec_lo
	v_mbcnt_lo_u32_b32 v0, s4, 0
	global_wb scope:SCOPE_DEV
	s_wait_storecnt 0x0
	s_wait_loadcnt_dscnt 0x0
	global_inv scope:SCOPE_DEV
	v_cmpx_eq_u32_e32 0, v0
	s_cbranch_execz .LBB0_27
; %bb.26:
	s_bcnt1_i32_b32 s4, s4
	s_delay_alu instid0(SALU_CYCLE_1)
	v_dual_mov_b32 v1, 0 :: v_dual_mov_b32 v0, s4
	s_wait_loadcnt 0x0
	ds_add_u64 v0, v[0:1]
	s_trap 2
.LBB0_27:
	s_or_b32 exec_lo, exec_lo, s3
	s_trap 2
	ds_load_b64 v[2:3], v0
	s_wait_dscnt 0x0
	v_dual_mov_b32 v1, 0 :: v_dual_lshrrev_b32 v0, 5, v20
	s_mov_b32 s3, exec_lo
	s_delay_alu instid0(VALU_DEP_1) | instskip(NEXT) | instid1(VALU_DEP_1)
	v_add_nc_u64_e32 v[0:1], v[52:53], v[0:1]
	v_cmpx_lt_u64_e64 v[2:3], v[0:1]
	s_cbranch_execz .LBB0_1251
; %bb.28:
	s_mov_b32 s4, 0
	s_mov_b32 s7, 0
                                        ; implicit-def: $sgpr5
                                        ; implicit-def: $sgpr6
	s_branch .LBB0_30
.LBB0_29:                               ;   in Loop: Header=BB0_30 Depth=1
	s_or_b32 exec_lo, exec_lo, s9
	s_delay_alu instid0(SALU_CYCLE_1) | instskip(NEXT) | instid1(SALU_CYCLE_1)
	s_and_b32 s8, exec_lo, s10
	s_or_b32 s4, s8, s4
	s_and_not1_b32 s5, s5, exec_lo
	s_and_b32 s8, s6, exec_lo
	s_delay_alu instid0(SALU_CYCLE_1)
	s_or_b32 s5, s5, s8
	s_and_not1_b32 exec_lo, exec_lo, s4
	s_cbranch_execz .LBB0_1249
.LBB0_30:                               ; =>This Inner Loop Header: Depth=1
	s_add_co_i32 s7, s7, 1
	s_delay_alu instid0(SALU_CYCLE_1) | instskip(SKIP_1) | instid1(SALU_CYCLE_1)
	s_cmp_lg_u32 s7, 0x2710
	s_cselect_b32 s8, -1, 0
	s_and_b32 vcc_lo, exec_lo, s8
	s_cbranch_vccz .LBB0_32
; %bb.31:                               ;   in Loop: Header=BB0_30 Depth=1
	s_mov_b32 s10, -1
	s_or_b32 s6, s6, exec_lo
	s_and_saveexec_b32 s9, s8
	s_cbranch_execz .LBB0_29
	s_branch .LBB0_33
.LBB0_32:                               ;   in Loop: Header=BB0_30 Depth=1
	s_trap 2
	ds_load_b64 v[2:3], v0
	s_and_not1_b32 s8, s8, exec_lo
	s_mov_b32 s7, 0
	s_wait_loadcnt_dscnt 0x0
	flat_load_b32 v2, v[2:3] scope:SCOPE_SYS
	s_wait_loadcnt_dscnt 0x0
	global_inv scope:SCOPE_SYS
	v_cmp_eq_u32_e32 vcc_lo, 0, v2
	s_and_b32 s9, vcc_lo, exec_lo
	s_delay_alu instid0(SALU_CYCLE_1)
	s_or_b32 s8, s8, s9
	s_mov_b32 s10, -1
	s_or_b32 s6, s6, exec_lo
	s_and_saveexec_b32 s9, s8
	s_cbranch_execz .LBB0_29
.LBB0_33:                               ;   in Loop: Header=BB0_30 Depth=1
	s_sleep 1
	s_trap 2
	ds_load_b64 v[2:3], v0
	s_wait_dscnt 0x0
	s_and_not1_b32 s6, s6, exec_lo
	v_cmp_ge_u64_e32 vcc_lo, v[2:3], v[0:1]
	s_or_not1_b32 s10, vcc_lo, exec_lo
	s_branch .LBB0_29
.LBB0_34:
	v_dual_mov_b32 v55, 0 :: v_dual_bitop2_b32 v1, 31, v31 bitop3:0x40
	v_add_nc_u64_e32 v[2:3], v[68:69], v[4:5]
	s_ashr_i32 s1, s2, 31
	s_ashr_i32 s11, s10, 31
	s_delay_alu instid0(VALU_DEP_2)
	v_mov_b32_e32 v85, v55
	v_cmp_eq_u32_e64 s5, 0, v1
	v_and_b32_e32 v1, 1, v86
	s_lshr_b32 s1, s1, 29
	v_add_nc_u64_e32 v[68:69], v[2:3], v[18:19]
	v_add_nc_u64_e32 v[2:3], v[24:25], v[10:11]
	v_dual_mov_b32 v83, v55 :: v_dual_lshlrev_b32 v84, 3, v0
	v_cmp_eq_u32_e64 s6, 1, v1
	v_dual_mov_b32 v1, v55 :: v_dual_mov_b32 v21, v55
	s_add_co_i32 s2, s2, s1
	v_mov_b64_e32 v[80:81], 0
	s_ashr_i32 s4, s2, 3
	s_ashr_i32 s16, s2, 7
	s_lshl_b64 s[2:3], s[10:11], 2
	v_cmp_ne_u64_e64 s1, 0, v[50:51]
	v_add_nc_u64_e32 v[70:71], s[2:3], v[22:23]
	s_wait_dscnt 0x0
	v_cmp_ne_u64_e64 s2, 0, v[12:13]
	v_add_nc_u64_e32 v[96:97], v[10:11], v[84:85]
	v_cmp_ne_u64_e64 s7, 0, v[48:49]
	v_add_nc_u64_e32 v[8:9], v[8:9], v[84:85]
	v_add_nc_u64_e32 v[98:99], v[2:3], v[84:85]
	v_lshlrev_b64_e32 v[102:103], 4, v[20:21]
	v_mov_b64_e32 v[52:53], 0
	v_and_b32_e32 v66, 0x1fffff0, v54
	v_dual_mov_b32 v67, v55 :: v_dual_lshrrev_b32 v82, 5, v20
	s_and_b32 s11, s4, -16
	v_cmp_ne_u32_e64 s3, 32, v20
	v_cmp_ne_u32_e64 s4, v20, v56
	v_dual_mov_b32 v87, v55 :: v_dual_lshlrev_b32 v86, 3, v20
	v_lshlrev_b32_e32 v57, 6, v20
	v_lshl_add_u64 v[100:101], v[0:1], 4, v[36:37]
	v_mov_b32_e32 v1, 1
	v_mov_b32_e32 v21, 0x7f800000
	v_dual_mov_b32 v58, 0x7c :: v_dual_mov_b32 v59, 0
	s_cmp_gt_i32 s10, 2
	s_mov_b64 s[12:13], 0xffffffffffffff
	s_mov_b32 s17, 0
	s_cselect_b32 s18, -1, 0
	s_branch .LBB0_36
.LBB0_35:                               ;   in Loop: Header=BB0_36 Depth=1
	s_wait_xcnt 0x0
	s_or_b32 exec_lo, exec_lo, s8
	v_add_nc_u64_e32 v[80:81], v[80:81], v[66:67]
	v_add_nc_u64_e32 v[34:35], 1, v[34:35]
	;; [unrolled: 1-line block ×3, first 2 shown]
	s_delay_alu instid0(VALU_DEP_3) | instskip(SKIP_1) | instid1(SALU_CYCLE_1)
	v_cmp_ge_u64_e32 vcc_lo, v[80:81], v[6:7]
	s_or_b32 s17, vcc_lo, s17
	s_and_not1_b32 exec_lo, exec_lo, s17
	s_cbranch_execz .LBB0_1247
.LBB0_36:                               ; =>This Loop Header: Depth=1
                                        ;     Child Loop BB0_41 Depth 2
                                        ;     Child Loop BB0_60 Depth 2
	;; [unrolled: 1-line block ×5, first 2 shown]
                                        ;       Child Loop BB0_90 Depth 3
                                        ;       Child Loop BB0_109 Depth 3
	;; [unrolled: 1-line block ×3, first 2 shown]
                                        ;         Child Loop BB0_138 Depth 4
                                        ;       Child Loop BB0_665 Depth 3
                                        ;       Child Loop BB0_126 Depth 3
                                        ;     Child Loop BB0_681 Depth 2
                                        ;       Child Loop BB0_689 Depth 3
                                        ;     Child Loop BB0_1235 Depth 2
	s_wait_loadcnt_dscnt 0x0
	flat_load_b32 v19, v[70:71] offset:-4
	v_sub_nc_u64_e32 v[2:3], v[6:7], v[80:81]
	s_delay_alu instid0(VALU_DEP_1) | instskip(NEXT) | instid1(VALU_DEP_1)
	v_min_u64 v[2:3], v[66:67], v[2:3]
	v_lshl_add_u32 v3, v2, 1, 14
	s_delay_alu instid0(VALU_DEP_1)
	v_and_b32_e32 v61, 0x7fffff0, v3
	s_wait_xcnt 0x0
	s_and_saveexec_b32 s9, s1
	s_cbranch_execz .LBB0_52
; %bb.37:                               ;   in Loop: Header=BB0_36 Depth=1
	v_add_nc_u64_e32 v[4:5], 1, v[14:15]
	v_add_nc_u64_e32 v[112:113], 8, v[64:65]
	s_mov_b32 s19, exec_lo
	s_delay_alu instid0(VALU_DEP_1)
	v_cmpx_lt_u64_e64 v[112:113], v[4:5]
	s_cbranch_execz .LBB0_49
; %bb.38:                               ;   in Loop: Header=BB0_36 Depth=1
	s_mov_b32 s20, 0
	s_mov_b32 s24, 0
	v_cmp_eq_u32_e32 vcc_lo, 0, v59
                                        ; implicit-def: $sgpr21
                                        ; implicit-def: $sgpr22
                                        ; implicit-def: $sgpr23
	s_branch .LBB0_41
.LBB0_39:                               ;   in Loop: Header=BB0_41 Depth=2
	s_or_b32 exec_lo, exec_lo, s29
	s_delay_alu instid0(SALU_CYCLE_1)
	s_and_not1_b32 s8, s23, exec_lo
	s_and_b32 s23, s27, exec_lo
	s_and_not1_b32 s22, s22, exec_lo
	s_and_b32 s26, s26, exec_lo
	s_or_b32 s23, s8, s23
	s_or_b32 s22, s22, s26
.LBB0_40:                               ;   in Loop: Header=BB0_41 Depth=2
	s_or_b32 exec_lo, exec_lo, s25
	s_delay_alu instid0(SALU_CYCLE_1) | instskip(NEXT) | instid1(SALU_CYCLE_1)
	s_and_b32 s8, exec_lo, s22
	s_or_b32 s20, s8, s20
	s_and_not1_b32 s8, s21, exec_lo
	s_and_b32 s21, s23, exec_lo
	s_delay_alu instid0(SALU_CYCLE_1)
	s_or_b32 s21, s8, s21
	s_and_not1_b32 exec_lo, exec_lo, s20
	s_cbranch_execz .LBB0_46
.LBB0_41:                               ;   Parent Loop BB0_36 Depth=1
                                        ; =>  This Inner Loop Header: Depth=2
	s_sleep 1
	s_wait_loadcnt_dscnt 0x0
	flat_load_b64 v[64:65], v[50:51] scope:SCOPE_DEV
	v_mov_b32_e32 v59, 1
	s_or_b32 s23, s23, exec_lo
	s_or_b32 s22, s22, exec_lo
                                        ; implicit-def: $vgpr3
	s_wait_xcnt 0x0
	s_and_saveexec_b32 s25, vcc_lo
	s_cbranch_execz .LBB0_40
; %bb.42:                               ;   in Loop: Header=BB0_41 Depth=2
	s_add_co_i32 s24, s24, 1
	s_mov_b32 s26, -1
	s_cmp_lg_u32 s24, 0x2710
	s_mov_b32 s27, -1
	s_cselect_b32 s28, -1, 0
	s_cmp_eq_u32 s24, 0x2710
                                        ; implicit-def: $vgpr3
	s_cbranch_scc1 .LBB0_44
; %bb.43:                               ;   in Loop: Header=BB0_41 Depth=2
	v_mov_b32_e32 v59, 1
	s_and_saveexec_b32 s29, s28
	s_cbranch_execz .LBB0_39
	s_branch .LBB0_45
.LBB0_44:                               ;   in Loop: Header=BB0_41 Depth=2
	s_trap 2
	ds_load_b64 v[112:113], v0
	s_and_not1_b32 s24, s28, exec_lo
	s_mov_b32 s27, 0
	s_wait_storecnt 0x0
	s_wait_loadcnt_dscnt 0x0
	flat_load_b32 v3, v[112:113] scope:SCOPE_SYS
	s_wait_loadcnt_dscnt 0x0
	global_inv scope:SCOPE_SYS
	v_cmp_eq_u32_e64 s8, 0, v3
	s_and_b32 s8, s8, exec_lo
	s_delay_alu instid0(SALU_CYCLE_1)
	s_or_b32 s28, s24, s8
	s_mov_b32 s24, 0
	v_mov_b32_e32 v59, 1
	s_and_saveexec_b32 s29, s28
	s_cbranch_execz .LBB0_39
.LBB0_45:                               ;   in Loop: Header=BB0_41 Depth=2
	s_wait_loadcnt_dscnt 0x0
	v_add_nc_u64_e32 v[112:113], 8, v[64:65]
	v_mov_b32_e32 v59, 0
	s_or_b32 s27, s27, exec_lo
	s_delay_alu instid0(VALU_DEP_2)
	v_cmp_ge_u64_e64 s8, v[112:113], v[4:5]
	s_or_not1_b32 s26, s8, exec_lo
	s_branch .LBB0_39
.LBB0_46:                               ;   in Loop: Header=BB0_36 Depth=1
	s_or_b32 exec_lo, exec_lo, s20
	s_xor_b32 s8, s21, -1
	s_delay_alu instid0(SALU_CYCLE_1) | instskip(NEXT) | instid1(SALU_CYCLE_1)
	s_and_saveexec_b32 s20, s8
	s_xor_b32 s8, exec_lo, s20
	s_cbranch_execz .LBB0_48
; %bb.47:                               ;   in Loop: Header=BB0_36 Depth=1
	v_mov_b32_e32 v59, 1
	s_wait_storecnt 0x0
	s_wait_loadcnt_dscnt 0x0
	ds_store_b32 v0, v3
	s_trap 2
.LBB0_48:                               ;   in Loop: Header=BB0_36 Depth=1
	s_or_b32 exec_lo, exec_lo, s8
.LBB0_49:                               ;   in Loop: Header=BB0_36 Depth=1
	s_delay_alu instid0(SALU_CYCLE_1)
	s_or_b32 exec_lo, exec_lo, s19
	s_and_saveexec_b32 s8, s2
	s_cbranch_execz .LBB0_51
; %bb.50:                               ;   in Loop: Header=BB0_36 Depth=1
	v_and_b32_e32 v54, 0x7ffffff8, v14
	s_delay_alu instid0(VALU_DEP_1) | instskip(SKIP_1) | instid1(VALU_DEP_1)
	v_cmp_eq_u64_e32 vcc_lo, 0x7ffffff8, v[54:55]
	v_cndmask_b32_e64 v112, v61, s11, vcc_lo
	v_dual_ashrrev_i32 v113, 31, v112 :: v_dual_bitop2_b32 v3, 7, v14 bitop3:0x40
	s_delay_alu instid0(VALU_DEP_1)
	v_mad_nc_u64_u32 v[14:15], v3, 24, v[12:13]
	flat_store_b64 v[14:15], v[112:113] offset:8 scope:SCOPE_SYS
	s_wait_storecnt 0x0
.LBB0_51:                               ;   in Loop: Header=BB0_36 Depth=1
	s_wait_xcnt 0x0
	s_or_b32 exec_lo, exec_lo, s8
	v_mov_b64_e32 v[14:15], v[4:5]
.LBB0_52:                               ;   in Loop: Header=BB0_36 Depth=1
	s_or_b32 exec_lo, exec_lo, s9
	s_and_saveexec_b32 s8, s3
	s_cbranch_execz .LBB0_71
; %bb.53:                               ;   in Loop: Header=BB0_36 Depth=1
	s_and_saveexec_b32 s9, s4
	s_delay_alu instid0(SALU_CYCLE_1)
	s_xor_b32 s9, exec_lo, s9
	s_cbranch_execz .LBB0_68
; %bb.54:                               ;   in Loop: Header=BB0_36 Depth=1
	s_and_saveexec_b32 s19, s5
	s_cbranch_execz .LBB0_67
; %bb.55:                               ;   in Loop: Header=BB0_36 Depth=1
	s_mov_b32 s21, exec_lo
	s_mov_b32 s20, exec_lo
	v_mbcnt_lo_u32_b32 v3, s21, 0
	global_wb scope:SCOPE_DEV
	s_wait_storecnt 0x0
	s_wait_loadcnt_dscnt 0x0
	global_inv scope:SCOPE_DEV
	v_cmpx_eq_u32_e32 0, v3
	s_cbranch_execz .LBB0_57
; %bb.56:                               ;   in Loop: Header=BB0_36 Depth=1
	s_bcnt1_i32_b32 s21, s21
	s_delay_alu instid0(SALU_CYCLE_1)
	v_mov_b32_e32 v54, s21
	s_wait_loadcnt 0x0
	ds_add_u64 v0, v[54:55]
	s_trap 2
.LBB0_57:                               ;   in Loop: Header=BB0_36 Depth=1
	s_or_b32 exec_lo, exec_lo, s20
	s_trap 2
	ds_load_b64 v[4:5], v0
	s_wait_dscnt 0x0
	v_add_nc_u64_e32 v[52:53], v[52:53], v[82:83]
	s_mov_b32 s20, exec_lo
	s_delay_alu instid0(VALU_DEP_1)
	v_cmpx_lt_u64_e64 v[4:5], v[52:53]
	s_cbranch_execz .LBB0_66
; %bb.58:                               ;   in Loop: Header=BB0_36 Depth=1
	s_mov_b32 s21, 0
	s_mov_b32 s24, 0
                                        ; implicit-def: $sgpr22
                                        ; implicit-def: $sgpr23
	s_branch .LBB0_60
.LBB0_59:                               ;   in Loop: Header=BB0_60 Depth=2
	s_or_b32 exec_lo, exec_lo, s26
	s_delay_alu instid0(SALU_CYCLE_1) | instskip(NEXT) | instid1(SALU_CYCLE_1)
	s_and_b32 s25, exec_lo, s27
	s_or_b32 s21, s25, s21
	s_and_not1_b32 s22, s22, exec_lo
	s_and_b32 s25, s23, exec_lo
	s_delay_alu instid0(SALU_CYCLE_1)
	s_or_b32 s22, s22, s25
	s_and_not1_b32 exec_lo, exec_lo, s21
	s_cbranch_execz .LBB0_64
.LBB0_60:                               ;   Parent Loop BB0_36 Depth=1
                                        ; =>  This Inner Loop Header: Depth=2
	s_add_co_i32 s24, s24, 1
	s_delay_alu instid0(SALU_CYCLE_1) | instskip(SKIP_1) | instid1(SALU_CYCLE_1)
	s_cmp_lg_u32 s24, 0x2710
	s_cselect_b32 s25, -1, 0
	s_and_b32 vcc_lo, exec_lo, s25
	s_cbranch_vccz .LBB0_62
; %bb.61:                               ;   in Loop: Header=BB0_60 Depth=2
	s_mov_b32 s27, -1
	s_or_b32 s23, s23, exec_lo
	s_and_saveexec_b32 s26, s25
	s_cbranch_execz .LBB0_59
	s_branch .LBB0_63
.LBB0_62:                               ;   in Loop: Header=BB0_60 Depth=2
	s_trap 2
	ds_load_b64 v[4:5], v0
	s_and_not1_b32 s25, s25, exec_lo
	s_mov_b32 s24, 0
	s_wait_loadcnt_dscnt 0x0
	flat_load_b32 v3, v[4:5] scope:SCOPE_SYS
	s_wait_loadcnt_dscnt 0x0
	global_inv scope:SCOPE_SYS
	v_cmp_eq_u32_e32 vcc_lo, 0, v3
	s_and_b32 s26, vcc_lo, exec_lo
	s_delay_alu instid0(SALU_CYCLE_1)
	s_or_b32 s25, s25, s26
	s_mov_b32 s27, -1
	s_or_b32 s23, s23, exec_lo
	s_and_saveexec_b32 s26, s25
	s_cbranch_execz .LBB0_59
.LBB0_63:                               ;   in Loop: Header=BB0_60 Depth=2
	s_sleep 1
	s_trap 2
	ds_load_b64 v[4:5], v0
	s_wait_dscnt 0x0
	s_and_not1_b32 s23, s23, exec_lo
	v_cmp_ge_u64_e32 vcc_lo, v[4:5], v[52:53]
	s_or_not1_b32 s27, vcc_lo, exec_lo
	s_branch .LBB0_59
.LBB0_64:                               ;   in Loop: Header=BB0_36 Depth=1
	s_or_b32 exec_lo, exec_lo, s21
	s_and_saveexec_b32 s21, s22
	s_delay_alu instid0(SALU_CYCLE_1)
	s_xor_b32 s21, exec_lo, s21
	s_cbranch_execz .LBB0_66
; %bb.65:                               ;   in Loop: Header=BB0_36 Depth=1
	ds_store_b32 v0, v1
	s_trap 2
.LBB0_66:                               ;   in Loop: Header=BB0_36 Depth=1
	s_or_b32 exec_lo, exec_lo, s20
	;;#ASMSTART
	s_wakeup
	;;#ASMEND
.LBB0_67:                               ;   in Loop: Header=BB0_36 Depth=1
	s_or_b32 exec_lo, exec_lo, s19
.LBB0_68:                               ;   in Loop: Header=BB0_36 Depth=1
	s_and_not1_saveexec_b32 s9, s9
	s_cbranch_execz .LBB0_70
; %bb.69:                               ;   in Loop: Header=BB0_36 Depth=1
	global_wb scope:SCOPE_DEV
	s_wait_storecnt 0x0
	s_wait_loadcnt_dscnt 0x0
	global_inv scope:SCOPE_DEV
	s_barrier_signal -1
	s_barrier_wait -1
.LBB0_70:                               ;   in Loop: Header=BB0_36 Depth=1
	s_or_b32 exec_lo, exec_lo, s9
.LBB0_71:                               ;   in Loop: Header=BB0_36 Depth=1
	s_delay_alu instid0(SALU_CYCLE_1) | instskip(SKIP_2) | instid1(VALU_DEP_2)
	s_or_b32 exec_lo, exec_lo, s8
	v_dual_sub_nc_u32 v60, v2, v84 :: v_dual_mov_b32 v18, v0
	v_dual_add_nc_u32 v3, 1, v16 :: v_dual_bitop2_b32 v30, 7, v16 bitop3:0x40
	v_cmp_lt_i32_e64 s8, 0, v60
	s_and_saveexec_b32 s9, s8
	s_cbranch_execz .LBB0_79
; %bb.72:                               ;   in Loop: Header=BB0_36 Depth=1
	s_wait_loadcnt_dscnt 0x0
	v_mad_nc_u64_u32 v[112:113], v68, v19, v[98:99]
	v_mul_lo_u32 v4, v30, s16
	v_mul_lo_u32 v18, v68, v19
	v_mov_b32_e32 v116, v60
	s_mov_b32 s19, 0
	s_delay_alu instid0(VALU_DEP_4) | instskip(NEXT) | instid1(VALU_DEP_4)
	v_mad_u32 v2, v69, v19, v113
	v_dual_ashrrev_i32 v19, 31, v19 :: v_dual_ashrrev_i32 v5, 31, v4
	s_delay_alu instid0(VALU_DEP_1) | instskip(NEXT) | instid1(VALU_DEP_2)
	v_lshl_add_u64 v[114:115], v[4:5], 4, v[100:101]
	v_mad_u32 v113, v68, v19, v2
	v_add_lshl_u32 v19, v98, v18, 3
	v_mov_b32_e32 v18, v0
	s_branch .LBB0_74
.LBB0_73:                               ;   in Loop: Header=BB0_74 Depth=2
	s_wait_xcnt 0x0
	s_or_b32 exec_lo, exec_lo, s20
	s_wait_loadcnt 0x0
	v_alignbit_b32 v2, v118, v2, v19
	v_alignbit_b32 v4, v117, v118, v19
	v_dual_mov_b32 v5, v3 :: v_dual_sub_nc_u32 v116, v116, v86
	v_add_nc_u64_e32 v[112:113], v[112:113], v[86:87]
	v_dual_add_nc_u32 v18, v18, v20 :: v_dual_add_nc_u32 v19, v19, v57
	global_store_b128 v[114:115], v[2:5], off
	v_cmp_gt_i32_e32 vcc_lo, 1, v116
	s_wait_xcnt 0x0
	v_add_nc_u64_e32 v[114:115], v[114:115], v[102:103]
	s_or_b32 s19, vcc_lo, s19
	s_delay_alu instid0(SALU_CYCLE_1)
	s_and_not1_b32 exec_lo, exec_lo, s19
	s_cbranch_execz .LBB0_78
.LBB0_74:                               ;   Parent Loop BB0_36 Depth=1
                                        ; =>  This Inner Loop Header: Depth=2
	s_delay_alu instid0(VALU_DEP_3)
	v_dual_mov_b32 v5, v113 :: v_dual_bitop2_b32 v4, -4, v112 bitop3:0x40
	v_min_u32_e32 v54, 8, v116
	v_dual_mov_b32 v118, 0 :: v_dual_bitop2_b32 v117, 3, v112 bitop3:0x40
	s_mov_b32 s20, exec_lo
	global_load_b32 v2, v[4:5], off th:TH_LOAD_NT
	v_dual_mov_b32 v117, 0 :: v_dual_add_nc_u32 v54, v117, v54
	s_wait_xcnt 0x0
	s_delay_alu instid0(VALU_DEP_1)
	v_cmpx_lt_u32_e32 4, v54
	s_cbranch_execz .LBB0_76
; %bb.75:                               ;   in Loop: Header=BB0_74 Depth=2
	global_load_b32 v118, v[4:5], off offset:4 th:TH_LOAD_NT
.LBB0_76:                               ;   in Loop: Header=BB0_74 Depth=2
	s_wait_xcnt 0x0
	s_or_b32 exec_lo, exec_lo, s20
	s_delay_alu instid0(SALU_CYCLE_1)
	s_mov_b32 s20, exec_lo
	v_cmpx_lt_u64_e32 8, v[54:55]
	s_cbranch_execz .LBB0_73
; %bb.77:                               ;   in Loop: Header=BB0_74 Depth=2
	global_load_b32 v117, v[4:5], off offset:8 th:TH_LOAD_NT
	s_branch .LBB0_73
.LBB0_78:                               ;   in Loop: Header=BB0_36 Depth=1
	s_or_b32 exec_lo, exec_lo, s19
.LBB0_79:                               ;   in Loop: Header=BB0_36 Depth=1
	s_delay_alu instid0(SALU_CYCLE_1) | instskip(SKIP_2) | instid1(VALU_DEP_2)
	s_or_b32 exec_lo, exec_lo, s9
	v_and_b32_e32 v54, 0x7ffffff8, v16
	v_cmp_gt_i32_e64 s9, s16, v18
	v_cmp_eq_u64_e32 vcc_lo, 0x7ffffff8, v[54:55]
	s_and_b32 s19, vcc_lo, s9
	s_delay_alu instid0(SALU_CYCLE_1)
	s_and_saveexec_b32 s9, s19
	s_cbranch_execz .LBB0_82
; %bb.80:                               ;   in Loop: Header=BB0_36 Depth=1
	v_mul_lo_u32 v4, v30, s16
	v_mov_b32_e32 v2, v55
	s_mov_b32 s19, 0
	s_wait_loadcnt_dscnt 0x0
	s_delay_alu instid0(VALU_DEP_2) | instskip(NEXT) | instid1(VALU_DEP_1)
	v_dual_ashrrev_i32 v19, 31, v18 :: v_dual_ashrrev_i32 v5, 31, v4
	v_lshlrev_b64_e32 v[4:5], 4, v[4:5]
	s_delay_alu instid0(VALU_DEP_1) | instskip(NEXT) | instid1(VALU_DEP_1)
	v_lshl_add_u64 v[4:5], v[18:19], 4, v[4:5]
	v_add_nc_u64_e32 v[112:113], v[36:37], v[4:5]
.LBB0_81:                               ;   Parent Loop BB0_36 Depth=1
                                        ; =>  This Inner Loop Header: Depth=2
	v_dual_mov_b32 v4, v2 :: v_dual_mov_b32 v5, v3
	v_add_nc_u32_e32 v18, v18, v20
	global_store_b128 v[112:113], v[2:5], off
	v_cmp_le_i32_e32 vcc_lo, s16, v18
	s_wait_xcnt 0x0
	v_add_nc_u64_e32 v[112:113], v[112:113], v[102:103]
	s_or_b32 s19, vcc_lo, s19
	s_delay_alu instid0(SALU_CYCLE_1)
	s_and_not1_b32 exec_lo, exec_lo, s19
	s_cbranch_execnz .LBB0_81
.LBB0_82:                               ;   in Loop: Header=BB0_36 Depth=1
	s_or_b32 exec_lo, exec_lo, s9
	v_add_nc_u64_e32 v[112:113], v[80:81], v[24:25]
	v_add_nc_u64_e32 v[114:115], 1, v[16:17]
	s_and_not1_b32 vcc_lo, exec_lo, s18
	s_cbranch_vccnz .LBB0_676
; %bb.83:                               ;   in Loop: Header=BB0_36 Depth=1
	s_delay_alu instid0(VALU_DEP_2)
	v_add_nc_u64_e32 v[116:117], v[96:97], v[112:113]
	v_add_nc_u16 v62, v16, 1
	s_mov_b32 s19, 2
	s_branch .LBB0_85
.LBB0_84:                               ;   in Loop: Header=BB0_85 Depth=2
	s_or_b32 exec_lo, exec_lo, s9
	v_add_nc_u64_e32 v[34:35], 1, v[34:35]
	v_add_nc_u64_e32 v[114:115], 1, v[114:115]
	v_add_nc_u16 v62, v62, 1
	s_add_co_i32 s19, s19, 1
	s_delay_alu instid0(SALU_CYCLE_1)
	s_cmp_eq_u32 s19, s10
	s_cbranch_scc1 .LBB0_676
.LBB0_85:                               ;   Parent Loop BB0_36 Depth=1
                                        ; =>  This Loop Header: Depth=2
                                        ;       Child Loop BB0_90 Depth 3
                                        ;       Child Loop BB0_109 Depth 3
	;; [unrolled: 1-line block ×3, first 2 shown]
                                        ;         Child Loop BB0_138 Depth 4
                                        ;       Child Loop BB0_665 Depth 3
                                        ;       Child Loop BB0_126 Depth 3
	s_sub_co_i32 s9, s10, s19
	v_readfirstlane_b32 s20, v22
	v_mov_b32_e32 v2, s9
	v_readfirstlane_b32 s21, v23
	flat_load_b32 v4, v2, s[20:21] scale_offset
	s_wait_xcnt 0x0
	s_and_saveexec_b32 s20, s1
	s_cbranch_execz .LBB0_101
; %bb.86:                               ;   in Loop: Header=BB0_85 Depth=2
	v_add_nc_u64_e32 v[2:3], 1, v[14:15]
	s_wait_loadcnt_dscnt 0x101
	v_add_nc_u64_e32 v[16:17], 8, v[64:65]
	s_mov_b32 s21, exec_lo
	s_delay_alu instid0(VALU_DEP_1)
	v_cmpx_lt_u64_e64 v[16:17], v[2:3]
	s_cbranch_execz .LBB0_98
; %bb.87:                               ;   in Loop: Header=BB0_85 Depth=2
	s_mov_b32 s22, 0
	s_mov_b32 s26, 0
	v_cmp_eq_u32_e32 vcc_lo, 0, v59
                                        ; implicit-def: $sgpr23
                                        ; implicit-def: $sgpr24
                                        ; implicit-def: $sgpr25
	s_branch .LBB0_90
.LBB0_88:                               ;   in Loop: Header=BB0_90 Depth=3
	s_or_b32 exec_lo, exec_lo, s41
	s_delay_alu instid0(SALU_CYCLE_1)
	s_and_not1_b32 s9, s25, exec_lo
	s_and_b32 s25, s29, exec_lo
	s_and_not1_b32 s24, s24, exec_lo
	s_and_b32 s28, s28, exec_lo
	s_or_b32 s25, s9, s25
	s_or_b32 s24, s24, s28
.LBB0_89:                               ;   in Loop: Header=BB0_90 Depth=3
	s_or_b32 exec_lo, exec_lo, s27
	s_delay_alu instid0(SALU_CYCLE_1) | instskip(NEXT) | instid1(SALU_CYCLE_1)
	s_and_b32 s9, exec_lo, s24
	s_or_b32 s22, s9, s22
	s_and_not1_b32 s9, s23, exec_lo
	s_and_b32 s23, s25, exec_lo
	s_delay_alu instid0(SALU_CYCLE_1)
	s_or_b32 s23, s9, s23
	s_and_not1_b32 exec_lo, exec_lo, s22
	s_cbranch_execz .LBB0_95
.LBB0_90:                               ;   Parent Loop BB0_36 Depth=1
                                        ;     Parent Loop BB0_85 Depth=2
                                        ; =>    This Inner Loop Header: Depth=3
	s_sleep 1
	s_wait_loadcnt_dscnt 0x0
	flat_load_b64 v[64:65], v[50:51] scope:SCOPE_DEV
	v_mov_b32_e32 v59, 1
	s_or_b32 s25, s25, exec_lo
	s_or_b32 s24, s24, exec_lo
                                        ; implicit-def: $vgpr5
	s_wait_xcnt 0x0
	s_and_saveexec_b32 s27, vcc_lo
	s_cbranch_execz .LBB0_89
; %bb.91:                               ;   in Loop: Header=BB0_90 Depth=3
	s_add_co_i32 s26, s26, 1
	s_mov_b32 s28, -1
	s_cmp_lg_u32 s26, 0x2710
	s_mov_b32 s29, -1
	s_cselect_b32 s40, -1, 0
	s_cmp_eq_u32 s26, 0x2710
                                        ; implicit-def: $vgpr5
	s_cbranch_scc1 .LBB0_93
; %bb.92:                               ;   in Loop: Header=BB0_90 Depth=3
	v_mov_b32_e32 v59, 1
	s_and_saveexec_b32 s41, s40
	s_cbranch_execz .LBB0_88
	s_branch .LBB0_94
.LBB0_93:                               ;   in Loop: Header=BB0_90 Depth=3
	s_trap 2
	ds_load_b64 v[16:17], v0
	s_and_not1_b32 s26, s40, exec_lo
	s_mov_b32 s29, 0
	s_wait_storecnt 0x0
	s_wait_loadcnt_dscnt 0x0
	flat_load_b32 v5, v[16:17] scope:SCOPE_SYS
	s_wait_loadcnt_dscnt 0x0
	global_inv scope:SCOPE_SYS
	v_cmp_eq_u32_e64 s9, 0, v5
	s_and_b32 s9, s9, exec_lo
	s_delay_alu instid0(SALU_CYCLE_1)
	s_or_b32 s40, s26, s9
	s_mov_b32 s26, 0
	v_mov_b32_e32 v59, 1
	s_and_saveexec_b32 s41, s40
	s_cbranch_execz .LBB0_88
.LBB0_94:                               ;   in Loop: Header=BB0_90 Depth=3
	s_wait_loadcnt_dscnt 0x0
	v_add_nc_u64_e32 v[16:17], 8, v[64:65]
	v_mov_b32_e32 v59, 0
	s_or_b32 s29, s29, exec_lo
	s_delay_alu instid0(VALU_DEP_2)
	v_cmp_ge_u64_e64 s9, v[16:17], v[2:3]
	s_or_not1_b32 s28, s9, exec_lo
	s_branch .LBB0_88
.LBB0_95:                               ;   in Loop: Header=BB0_85 Depth=2
	s_or_b32 exec_lo, exec_lo, s22
	s_xor_b32 s9, s23, -1
	s_delay_alu instid0(SALU_CYCLE_1) | instskip(NEXT) | instid1(SALU_CYCLE_1)
	s_and_saveexec_b32 s22, s9
	s_xor_b32 s9, exec_lo, s22
	s_cbranch_execz .LBB0_97
; %bb.96:                               ;   in Loop: Header=BB0_85 Depth=2
	v_mov_b32_e32 v59, 1
	s_wait_storecnt 0x0
	s_wait_loadcnt_dscnt 0x0
	ds_store_b32 v0, v5
	s_trap 2
.LBB0_97:                               ;   in Loop: Header=BB0_85 Depth=2
	s_or_b32 exec_lo, exec_lo, s9
.LBB0_98:                               ;   in Loop: Header=BB0_85 Depth=2
	s_delay_alu instid0(SALU_CYCLE_1)
	s_or_b32 exec_lo, exec_lo, s21
	s_and_saveexec_b32 s9, s2
	s_cbranch_execz .LBB0_100
; %bb.99:                               ;   in Loop: Header=BB0_85 Depth=2
	v_and_b32_e32 v54, 0x7ffffff8, v14
	s_delay_alu instid0(VALU_DEP_1) | instskip(SKIP_1) | instid1(VALU_DEP_1)
	v_cmp_eq_u64_e32 vcc_lo, 0x7ffffff8, v[54:55]
	v_cndmask_b32_e64 v16, v61, s11, vcc_lo
	v_dual_ashrrev_i32 v17, 31, v16 :: v_dual_bitop2_b32 v5, 7, v14 bitop3:0x40
	s_delay_alu instid0(VALU_DEP_1)
	v_mad_nc_u64_u32 v[14:15], v5, 24, v[12:13]
	flat_store_b64 v[14:15], v[16:17] offset:8 scope:SCOPE_SYS
	s_wait_storecnt 0x0
.LBB0_100:                              ;   in Loop: Header=BB0_85 Depth=2
	s_wait_xcnt 0x0
	s_or_b32 exec_lo, exec_lo, s9
	v_mov_b64_e32 v[14:15], v[2:3]
.LBB0_101:                              ;   in Loop: Header=BB0_85 Depth=2
	s_or_b32 exec_lo, exec_lo, s20
	s_and_saveexec_b32 s9, s3
	s_cbranch_execz .LBB0_120
; %bb.102:                              ;   in Loop: Header=BB0_85 Depth=2
	s_and_saveexec_b32 s20, s4
	s_delay_alu instid0(SALU_CYCLE_1)
	s_xor_b32 s20, exec_lo, s20
	s_cbranch_execz .LBB0_117
; %bb.103:                              ;   in Loop: Header=BB0_85 Depth=2
	s_and_saveexec_b32 s21, s5
	s_cbranch_execz .LBB0_116
; %bb.104:                              ;   in Loop: Header=BB0_85 Depth=2
	s_mov_b32 s23, exec_lo
	s_mov_b32 s22, exec_lo
	v_mbcnt_lo_u32_b32 v2, s23, 0
	global_wb scope:SCOPE_DEV
	s_wait_storecnt 0x0
	s_wait_loadcnt_dscnt 0x0
	global_inv scope:SCOPE_DEV
	v_cmpx_eq_u32_e32 0, v2
	s_cbranch_execz .LBB0_106
; %bb.105:                              ;   in Loop: Header=BB0_85 Depth=2
	s_bcnt1_i32_b32 s23, s23
	s_delay_alu instid0(SALU_CYCLE_1)
	v_mov_b32_e32 v54, s23
	s_wait_loadcnt 0x0
	ds_add_u64 v0, v[54:55]
	s_trap 2
.LBB0_106:                              ;   in Loop: Header=BB0_85 Depth=2
	s_or_b32 exec_lo, exec_lo, s22
	s_trap 2
	ds_load_b64 v[2:3], v0
	s_wait_dscnt 0x0
	v_add_nc_u64_e32 v[52:53], v[52:53], v[82:83]
	s_mov_b32 s22, exec_lo
	s_delay_alu instid0(VALU_DEP_1)
	v_cmpx_lt_u64_e64 v[2:3], v[52:53]
	s_cbranch_execz .LBB0_115
; %bb.107:                              ;   in Loop: Header=BB0_85 Depth=2
	s_mov_b32 s23, 0
	s_mov_b32 s26, 0
                                        ; implicit-def: $sgpr24
                                        ; implicit-def: $sgpr25
	s_branch .LBB0_109
.LBB0_108:                              ;   in Loop: Header=BB0_109 Depth=3
	s_or_b32 exec_lo, exec_lo, s28
	s_delay_alu instid0(SALU_CYCLE_1) | instskip(NEXT) | instid1(SALU_CYCLE_1)
	s_and_b32 s27, exec_lo, s29
	s_or_b32 s23, s27, s23
	s_and_not1_b32 s24, s24, exec_lo
	s_and_b32 s27, s25, exec_lo
	s_delay_alu instid0(SALU_CYCLE_1)
	s_or_b32 s24, s24, s27
	s_and_not1_b32 exec_lo, exec_lo, s23
	s_cbranch_execz .LBB0_113
.LBB0_109:                              ;   Parent Loop BB0_36 Depth=1
                                        ;     Parent Loop BB0_85 Depth=2
                                        ; =>    This Inner Loop Header: Depth=3
	s_add_co_i32 s26, s26, 1
	s_delay_alu instid0(SALU_CYCLE_1) | instskip(SKIP_1) | instid1(SALU_CYCLE_1)
	s_cmp_lg_u32 s26, 0x2710
	s_cselect_b32 s27, -1, 0
	s_and_b32 vcc_lo, exec_lo, s27
	s_cbranch_vccz .LBB0_111
; %bb.110:                              ;   in Loop: Header=BB0_109 Depth=3
	s_mov_b32 s29, -1
	s_or_b32 s25, s25, exec_lo
	s_and_saveexec_b32 s28, s27
	s_cbranch_execz .LBB0_108
	s_branch .LBB0_112
.LBB0_111:                              ;   in Loop: Header=BB0_109 Depth=3
	s_trap 2
	ds_load_b64 v[2:3], v0
	s_and_not1_b32 s27, s27, exec_lo
	s_mov_b32 s26, 0
	s_wait_loadcnt_dscnt 0x0
	flat_load_b32 v2, v[2:3] scope:SCOPE_SYS
	s_wait_loadcnt_dscnt 0x0
	global_inv scope:SCOPE_SYS
	v_cmp_eq_u32_e32 vcc_lo, 0, v2
	s_and_b32 s28, vcc_lo, exec_lo
	s_delay_alu instid0(SALU_CYCLE_1)
	s_or_b32 s27, s27, s28
	s_mov_b32 s29, -1
	s_or_b32 s25, s25, exec_lo
	s_and_saveexec_b32 s28, s27
	s_cbranch_execz .LBB0_108
.LBB0_112:                              ;   in Loop: Header=BB0_109 Depth=3
	s_sleep 1
	s_trap 2
	ds_load_b64 v[2:3], v0
	s_wait_dscnt 0x0
	s_and_not1_b32 s25, s25, exec_lo
	v_cmp_ge_u64_e32 vcc_lo, v[2:3], v[52:53]
	s_or_not1_b32 s29, vcc_lo, exec_lo
	s_branch .LBB0_108
.LBB0_113:                              ;   in Loop: Header=BB0_85 Depth=2
	s_or_b32 exec_lo, exec_lo, s23
	s_and_saveexec_b32 s23, s24
	s_delay_alu instid0(SALU_CYCLE_1)
	s_xor_b32 s23, exec_lo, s23
	s_cbranch_execz .LBB0_115
; %bb.114:                              ;   in Loop: Header=BB0_85 Depth=2
	ds_store_b32 v0, v1
	s_trap 2
.LBB0_115:                              ;   in Loop: Header=BB0_85 Depth=2
	s_or_b32 exec_lo, exec_lo, s22
	;;#ASMSTART
	s_wakeup
	;;#ASMEND
.LBB0_116:                              ;   in Loop: Header=BB0_85 Depth=2
	s_or_b32 exec_lo, exec_lo, s21
.LBB0_117:                              ;   in Loop: Header=BB0_85 Depth=2
	s_and_not1_saveexec_b32 s20, s20
	s_cbranch_execz .LBB0_119
; %bb.118:                              ;   in Loop: Header=BB0_85 Depth=2
	global_wb scope:SCOPE_DEV
	s_wait_storecnt 0x0
	s_wait_loadcnt_dscnt 0x0
	global_inv scope:SCOPE_DEV
	s_barrier_signal -1
	s_barrier_wait -1
.LBB0_119:                              ;   in Loop: Header=BB0_85 Depth=2
	s_or_b32 exec_lo, exec_lo, s20
.LBB0_120:                              ;   in Loop: Header=BB0_85 Depth=2
	s_delay_alu instid0(SALU_CYCLE_1)
	s_or_b32 exec_lo, exec_lo, s9
	v_dual_mov_b32 v54, v0 :: v_dual_add_nc_u32 v3, 1, v114
	s_and_saveexec_b32 s20, s8
	s_cbranch_execnz .LBB0_127
; %bb.121:                              ;   in Loop: Header=BB0_85 Depth=2
	s_or_b32 exec_lo, exec_lo, s20
	s_and_saveexec_b32 s9, s3
	s_cbranch_execnz .LBB0_658
.LBB0_122:                              ;   in Loop: Header=BB0_85 Depth=2
	s_or_b32 exec_lo, exec_lo, s9
	s_and_saveexec_b32 s9, s7
	s_cbranch_execz .LBB0_124
.LBB0_123:                              ;   in Loop: Header=BB0_85 Depth=2
	v_add_nc_u64_e32 v[38:39], 1, v[38:39]
	global_wb scope:SCOPE_SYS
	s_wait_storecnt 0x0
	s_wait_loadcnt_dscnt 0x0
	flat_store_b64 v[48:49], v[38:39] scope:SCOPE_SYS
.LBB0_124:                              ;   in Loop: Header=BB0_85 Depth=2
	s_wait_xcnt 0x0
	s_or_b32 exec_lo, exec_lo, s9
	s_wait_loadcnt_dscnt 0x0
	v_and_b32_e32 v4, 0x7ffffff8, v114
	v_mov_b32_e32 v5, v55
	v_cmp_gt_i32_e64 s9, s16, v54
	s_delay_alu instid0(VALU_DEP_2) | instskip(SKIP_1) | instid1(SALU_CYCLE_1)
	v_cmp_eq_u64_e32 vcc_lo, 0x7ffffff8, v[4:5]
	s_and_b32 s20, vcc_lo, s9
	s_and_saveexec_b32 s9, s20
	s_cbranch_execz .LBB0_84
; %bb.125:                              ;   in Loop: Header=BB0_85 Depth=2
	v_and_b32_e32 v2, 7, v62
	v_dual_mov_b32 v16, v54 :: v_dual_ashrrev_i32 v17, 31, v54
	s_mov_b32 s20, 0
	s_delay_alu instid0(VALU_DEP_2) | instskip(NEXT) | instid1(VALU_DEP_1)
	v_mul_lo_u32 v4, s16, v2
	v_dual_mov_b32 v2, v55 :: v_dual_ashrrev_i32 v5, 31, v4
	s_delay_alu instid0(VALU_DEP_1) | instskip(NEXT) | instid1(VALU_DEP_1)
	v_lshlrev_b64_e32 v[4:5], 4, v[4:5]
	v_lshl_add_u64 v[4:5], v[16:17], 4, v[4:5]
	s_delay_alu instid0(VALU_DEP_1)
	v_add_nc_u64_e32 v[16:17], v[36:37], v[4:5]
.LBB0_126:                              ;   Parent Loop BB0_36 Depth=1
                                        ;     Parent Loop BB0_85 Depth=2
                                        ; =>    This Inner Loop Header: Depth=3
	s_delay_alu instid0(VALU_DEP_4)
	v_dual_mov_b32 v4, v2 :: v_dual_mov_b32 v5, v3
	v_add_nc_u32_e32 v54, v54, v20
	global_store_b128 v[16:17], v[2:5], off
	v_cmp_le_i32_e32 vcc_lo, s16, v54
	s_wait_xcnt 0x0
	v_add_nc_u64_e32 v[16:17], v[16:17], v[102:103]
	s_or_b32 s20, vcc_lo, s20
	s_delay_alu instid0(SALU_CYCLE_1)
	s_and_not1_b32 exec_lo, exec_lo, s20
	s_cbranch_execnz .LBB0_126
	s_branch .LBB0_84
.LBB0_127:                              ;   in Loop: Header=BB0_85 Depth=2
	v_and_b32_e32 v2, 7, v34
	s_wait_loadcnt_dscnt 0x0
	v_mad_nc_u64_u32 v[118:119], v68, v4, v[116:117]
	v_dual_mov_b32 v54, v0 :: v_dual_add_nc_u32 v63, 1, v34
	s_mov_b32 s21, 0
	v_mul_lo_u32 v16, v2, s16
	v_dual_mov_b32 v72, v60 :: v_dual_bitop2_b32 v5, 7, v114 bitop3:0x40
	s_delay_alu instid0(VALU_DEP_4) | instskip(SKIP_1) | instid1(VALU_DEP_4)
	v_mad_u32 v2, v69, v4, v119
	v_ashrrev_i32_e32 v4, 31, v4
	v_ashrrev_i32_e32 v17, 31, v16
	s_delay_alu instid0(VALU_DEP_4) | instskip(NEXT) | instid1(VALU_DEP_2)
	v_mul_lo_u32 v18, v5, s16
	v_lshl_add_u64 v[40:41], v[16:17], 4, v[32:33]
	s_delay_alu instid0(VALU_DEP_4) | instskip(NEXT) | instid1(VALU_DEP_3)
	v_mad_u32 v119, v68, v4, v2
	v_ashrrev_i32_e32 v19, 31, v18
	s_delay_alu instid0(VALU_DEP_1)
	v_lshl_add_u64 v[42:43], v[18:19], 4, v[36:37]
	s_branch .LBB0_130
.LBB0_128:                              ;   in Loop: Header=BB0_130 Depth=3
	s_or_b32 exec_lo, exec_lo, s22
.LBB0_129:                              ;   in Loop: Header=BB0_130 Depth=3
	s_delay_alu instid0(SALU_CYCLE_1) | instskip(SKIP_4) | instid1(VALU_DEP_3)
	s_or_b32 exec_lo, exec_lo, s9
	v_dual_lshlrev_b32 v2, 8, v74 :: v_dual_lshlrev_b32 v5, 8, v76
	v_dual_lshlrev_b32 v4, 16, v46 :: v_dual_lshlrev_b32 v17, 16, v77
	v_dual_lshlrev_b32 v18, 24, v47 :: v_dual_sub_nc_u32 v72, v72, v86
	v_add_nc_u64_e32 v[118:119], v[118:119], v[86:87]
	v_or3_b32 v2, v2, v73, v4
	v_lshlrev_b32_e32 v4, 24, v16
	v_or3_b32 v5, v5, v75, v17
	v_lshl_add_u64 v[16:17], v[54:55], 4, v[42:43]
	v_add_nc_u32_e32 v54, v54, v20
	v_or3_b32 v2, v2, v18, 0
	s_delay_alu instid0(VALU_DEP_4)
	v_or3_b32 v4, v5, v4, 0
	v_mov_b32_e32 v5, v3
	v_cmp_gt_i32_e32 vcc_lo, 1, v72
	global_store_b128 v[16:17], v[2:5], off
	s_or_b32 s21, vcc_lo, s21
	s_wait_xcnt 0x0
	s_and_not1_b32 exec_lo, exec_lo, s21
	s_cbranch_execz .LBB0_657
.LBB0_130:                              ;   Parent Loop BB0_36 Depth=1
                                        ;     Parent Loop BB0_85 Depth=2
                                        ; =>    This Loop Header: Depth=3
                                        ;         Child Loop BB0_138 Depth 4
	s_delay_alu instid0(VALU_DEP_3)
	v_dual_mov_b32 v5, v119 :: v_dual_bitop2_b32 v4, -4, v118 bitop3:0x40
	v_min_u32_e32 v16, 8, v72
	v_dual_mov_b32 v75, 0 :: v_dual_bitop2_b32 v17, 3, v118 bitop3:0x40
	v_mov_b32_e32 v76, 0
	global_load_b32 v2, v[4:5], off th:TH_LOAD_NT
	s_mov_b32 s9, exec_lo
	v_add_nc_u32_e32 v16, v17, v16
	s_wait_xcnt 0x0
	s_delay_alu instid0(VALU_DEP_1)
	v_cmpx_lt_u32_e32 4, v16
	s_cbranch_execz .LBB0_132
; %bb.131:                              ;   in Loop: Header=BB0_130 Depth=3
	global_load_b32 v76, v[4:5], off offset:4 th:TH_LOAD_NT
.LBB0_132:                              ;   in Loop: Header=BB0_130 Depth=3
	s_wait_xcnt 0x0
	s_or_b32 exec_lo, exec_lo, s9
	v_mov_b32_e32 v17, v55
	s_mov_b32 s9, exec_lo
	s_delay_alu instid0(VALU_DEP_1)
	v_cmpx_lt_u64_e32 8, v[16:17]
	s_cbranch_execz .LBB0_134
; %bb.133:                              ;   in Loop: Header=BB0_130 Depth=3
	global_load_b32 v75, v[4:5], off offset:8 th:TH_LOAD_NT
.LBB0_134:                              ;   in Loop: Header=BB0_130 Depth=3
	s_wait_xcnt 0x0
	s_or_b32 exec_lo, exec_lo, s9
	v_lshl_add_u64 v[4:5], v[54:55], 4, v[40:41]
	v_cmp_eq_u32_e32 vcc_lo, 0, v59
	v_mov_b32_e32 v59, 1
	global_load_b128 v[16:19], v[4:5], off th:TH_LOAD_NT
	s_wait_xcnt 0x0
	s_and_saveexec_b32 s22, vcc_lo
	s_cbranch_execz .LBB0_146
; %bb.135:                              ;   in Loop: Header=BB0_130 Depth=3
	s_wait_loadcnt 0x0
	v_cmp_ne_u32_e32 vcc_lo, v63, v17
	v_cmp_ne_u32_e64 s9, v63, v19
	v_mov_b32_e32 v59, 0
	s_or_b32 s9, vcc_lo, s9
	s_delay_alu instid0(SALU_CYCLE_1)
	s_and_saveexec_b32 s23, s9
	s_cbranch_execz .LBB0_145
; %bb.136:                              ;   in Loop: Header=BB0_130 Depth=3
	s_mov_b32 s27, 1
	s_mov_b32 s25, 0
                                        ; implicit-def: $sgpr24
                                        ; implicit-def: $sgpr26
	s_branch .LBB0_138
.LBB0_137:                              ;   in Loop: Header=BB0_138 Depth=4
	s_or_b32 exec_lo, exec_lo, s29
	s_delay_alu instid0(SALU_CYCLE_1) | instskip(NEXT) | instid1(SALU_CYCLE_1)
	s_and_b32 s9, exec_lo, s9
	s_or_b32 s25, s9, s25
	s_and_not1_b32 s9, s24, exec_lo
	s_and_b32 s24, s26, exec_lo
	s_delay_alu instid0(SALU_CYCLE_1)
	s_or_b32 s24, s9, s24
	s_and_not1_b32 exec_lo, exec_lo, s25
	s_cbranch_execz .LBB0_142
.LBB0_138:                              ;   Parent Loop BB0_36 Depth=1
                                        ;     Parent Loop BB0_85 Depth=2
                                        ;       Parent Loop BB0_130 Depth=3
                                        ; =>      This Inner Loop Header: Depth=4
	s_wait_loadcnt 0x0
	global_load_b128 v[16:19], v[4:5], off th:TH_LOAD_NT
	s_add_co_i32 s27, s27, 1
	s_mov_b32 s9, -1
	s_cmp_lg_u32 s27, 0x2710
	s_mov_b32 s28, -1
                                        ; implicit-def: $vgpr30
	s_cbranch_scc0 .LBB0_140
; %bb.139:                              ;   in Loop: Header=BB0_138 Depth=4
	s_or_b32 s26, s26, exec_lo
	s_wait_xcnt 0x0
	s_and_saveexec_b32 s29, s28
	s_cbranch_execz .LBB0_137
	s_branch .LBB0_141
.LBB0_140:                              ;   in Loop: Header=BB0_138 Depth=4
	s_trap 2
	ds_load_b64 v[44:45], v0
	s_mov_b32 s27, 0
	s_wait_storecnt 0x0
	s_wait_loadcnt_dscnt 0x0
	flat_load_b32 v30, v[44:45] scope:SCOPE_SYS
	s_wait_loadcnt_dscnt 0x0
	global_inv scope:SCOPE_SYS
	v_cmp_eq_u32_e32 vcc_lo, 0, v30
	s_or_not1_b32 s28, vcc_lo, exec_lo
	s_or_b32 s26, s26, exec_lo
	s_wait_xcnt 0x0
	s_and_saveexec_b32 s29, s28
	s_cbranch_execz .LBB0_137
.LBB0_141:                              ;   in Loop: Header=BB0_138 Depth=4
	s_wait_loadcnt 0x0
	v_cmp_eq_u32_e32 vcc_lo, v63, v17
	v_cmp_eq_u32_e64 s9, v63, v19
	s_and_not1_b32 s26, s26, exec_lo
	s_and_b32 s9, vcc_lo, s9
	s_delay_alu instid0(SALU_CYCLE_1)
	s_or_not1_b32 s9, s9, exec_lo
	s_branch .LBB0_137
.LBB0_142:                              ;   in Loop: Header=BB0_130 Depth=3
	s_or_b32 exec_lo, exec_lo, s25
	v_mov_b32_e32 v59, 0
	s_and_saveexec_b32 s9, s24
	s_delay_alu instid0(SALU_CYCLE_1)
	s_xor_b32 s9, exec_lo, s9
	s_cbranch_execz .LBB0_144
; %bb.143:                              ;   in Loop: Header=BB0_130 Depth=3
	v_mov_b32_e32 v59, 1
	s_wait_loadcnt 0x0
	s_wait_storecnt 0x0
	ds_store_b32 v0, v30
	s_trap 2
.LBB0_144:                              ;   in Loop: Header=BB0_130 Depth=3
	s_or_b32 exec_lo, exec_lo, s9
.LBB0_145:                              ;   in Loop: Header=BB0_130 Depth=3
	s_delay_alu instid0(SALU_CYCLE_1)
	s_or_b32 exec_lo, exec_lo, s23
.LBB0_146:                              ;   in Loop: Header=BB0_130 Depth=3
	s_delay_alu instid0(SALU_CYCLE_1) | instskip(SKIP_4) | instid1(VALU_DEP_3)
	s_or_b32 exec_lo, exec_lo, s22
	v_dual_lshlrev_b32 v77, 3, v118 :: v_dual_mov_b32 v5, v55
	s_wait_loadcnt 0x0
	v_and_b32_e32 v30, 0xff, v16
	v_bfe_i32 v45, v16, 0, 8
	v_alignbit_b32 v4, v76, v2, v77
	s_delay_alu instid0(VALU_DEP_3) | instskip(NEXT) | instid1(VALU_DEP_2)
	v_cmp_ne_u16_e32 vcc_lo, 0, v30
                                        ; implicit-def: $vgpr30
	v_bfe_i32 v2, v4, 0, 8
	s_and_saveexec_b32 s9, s6
	s_delay_alu instid0(SALU_CYCLE_1)
	s_xor_b32 s22, exec_lo, s9
	s_cbranch_execz .LBB0_168
; %bb.147:                              ;   in Loop: Header=BB0_130 Depth=3
	v_dual_mov_b32 v44, 0 :: v_dual_mov_b32 v30, 0
	s_and_saveexec_b32 s23, vcc_lo
	s_cbranch_execz .LBB0_157
; %bb.148:                              ;   in Loop: Header=BB0_130 Depth=3
	v_bfrev_b32_e32 v30, 1
	s_mov_b32 s24, exec_lo
	v_cmpx_ne_u16_e32 0xff80, v45
	s_cbranch_execz .LBB0_156
; %bb.149:                              ;   in Loop: Header=BB0_130 Depth=3
	v_and_b32_e32 v30, 0x7c, v16
	v_and_b32_e32 v46, 3, v16
	s_delay_alu instid0(VALU_DEP_2) | instskip(SKIP_1) | instid1(SALU_CYCLE_1)
	v_cmp_ne_u32_e64 s9, 0x7c, v30
                                        ; implicit-def: $vgpr30
	s_and_saveexec_b32 s25, s9
	s_xor_b32 s25, exec_lo, s25
	s_cbranch_execz .LBB0_153
; %bb.150:                              ;   in Loop: Header=BB0_130 Depth=3
	v_bfe_u32 v30, v16, 2, 5
	s_mov_b32 s26, exec_lo
	s_delay_alu instid0(VALU_DEP_1)
	v_cmpx_eq_u32_e32 0, v30
; %bb.151:                              ;   in Loop: Header=BB0_130 Depth=3
	v_clz_i32_u32_e32 v30, v46
	s_delay_alu instid0(VALU_DEP_1) | instskip(NEXT) | instid1(VALU_DEP_1)
	v_min_u32_e32 v30, 32, v30
	v_subrev_nc_u32_e32 v45, 29, v30
	v_sub_nc_u32_e32 v30, 30, v30
	s_delay_alu instid0(VALU_DEP_2) | instskip(NEXT) | instid1(VALU_DEP_1)
	v_lshlrev_b64_e32 v[46:47], v45, v[16:17]
	v_and_b32_e32 v46, 3, v46
; %bb.152:                              ;   in Loop: Header=BB0_130 Depth=3
	s_or_b32 exec_lo, exec_lo, s26
	v_lshlrev_b32_e32 v45, 24, v16
	s_delay_alu instid0(VALU_DEP_1) | instskip(NEXT) | instid1(VALU_DEP_1)
	v_and_b32_e32 v45, 0x80000000, v45
	v_lshl_add_u32 v30, v30, 23, v45
                                        ; implicit-def: $vgpr45
	s_delay_alu instid0(VALU_DEP_1) | instskip(NEXT) | instid1(VALU_DEP_1)
	v_lshl_or_b32 v30, v46, 21, v30
                                        ; implicit-def: $vgpr46
	v_add_nc_u32_e32 v30, 0x38000000, v30
.LBB0_153:                              ;   in Loop: Header=BB0_130 Depth=3
	s_and_not1_saveexec_b32 s25, s25
; %bb.154:                              ;   in Loop: Header=BB0_130 Depth=3
	v_cmp_lt_i16_e64 s9, -1, v45
	s_delay_alu instid0(VALU_DEP_1) | instskip(SKIP_1) | instid1(VALU_DEP_1)
	v_cndmask_b32_e64 v30, 0xff800000, v21, s9
	v_cmp_eq_u32_e64 s9, 0, v46
	v_cndmask_b32_e64 v30, 0x7f800001, v30, s9
; %bb.155:                              ;   in Loop: Header=BB0_130 Depth=3
	s_or_b32 exec_lo, exec_lo, s25
.LBB0_156:                              ;   in Loop: Header=BB0_130 Depth=3
	s_delay_alu instid0(SALU_CYCLE_1)
	s_or_b32 exec_lo, exec_lo, s24
.LBB0_157:                              ;   in Loop: Header=BB0_130 Depth=3
	s_delay_alu instid0(SALU_CYCLE_1) | instskip(NEXT) | instid1(SALU_CYCLE_1)
	s_or_b32 exec_lo, exec_lo, s23
	s_mov_b32 s23, exec_lo
	v_cmpx_ne_u16_e32 0, v2
	s_cbranch_execz .LBB0_167
; %bb.158:                              ;   in Loop: Header=BB0_130 Depth=3
	v_bfrev_b32_e32 v44, 1
	s_mov_b32 s24, exec_lo
	v_cmpx_ne_u16_e32 0xff80, v2
	s_cbranch_execz .LBB0_166
; %bb.159:                              ;   in Loop: Header=BB0_130 Depth=3
	v_and_b32_e32 v44, 0x7c, v4
	v_and_b32_e32 v45, 3, v4
	s_delay_alu instid0(VALU_DEP_2) | instskip(SKIP_1) | instid1(SALU_CYCLE_1)
	v_cmp_ne_u32_e64 s9, 0x7c, v44
                                        ; implicit-def: $vgpr44
	s_and_saveexec_b32 s25, s9
	s_xor_b32 s25, exec_lo, s25
	s_cbranch_execz .LBB0_163
; %bb.160:                              ;   in Loop: Header=BB0_130 Depth=3
	v_bfe_u32 v2, v4, 2, 5
	s_mov_b32 s26, exec_lo
	s_delay_alu instid0(VALU_DEP_1)
	v_cmpx_eq_u32_e32 0, v2
; %bb.161:                              ;   in Loop: Header=BB0_130 Depth=3
	v_clz_i32_u32_e32 v2, v45
	s_delay_alu instid0(VALU_DEP_1) | instskip(NEXT) | instid1(VALU_DEP_1)
	v_min_u32_e32 v2, 32, v2
	v_subrev_nc_u32_e32 v44, 29, v2
	s_delay_alu instid0(VALU_DEP_1) | instskip(NEXT) | instid1(VALU_DEP_1)
	v_lshlrev_b64_e32 v[44:45], v44, v[4:5]
	v_dual_sub_nc_u32 v2, 30, v2 :: v_dual_bitop2_b32 v45, 3, v44 bitop3:0x40
; %bb.162:                              ;   in Loop: Header=BB0_130 Depth=3
	s_or_b32 exec_lo, exec_lo, s26
	v_lshlrev_b32_e32 v44, 24, v4
	s_delay_alu instid0(VALU_DEP_1) | instskip(NEXT) | instid1(VALU_DEP_1)
	v_and_b32_e32 v44, 0x80000000, v44
	v_lshl_add_u32 v2, v2, 23, v44
	s_delay_alu instid0(VALU_DEP_1) | instskip(NEXT) | instid1(VALU_DEP_1)
	v_lshl_or_b32 v2, v45, 21, v2
                                        ; implicit-def: $vgpr45
	v_add_nc_u32_e32 v44, 0x38000000, v2
                                        ; implicit-def: $vgpr2
.LBB0_163:                              ;   in Loop: Header=BB0_130 Depth=3
	s_and_not1_saveexec_b32 s25, s25
; %bb.164:                              ;   in Loop: Header=BB0_130 Depth=3
	v_cmp_lt_i16_e64 s9, -1, v2
	s_delay_alu instid0(VALU_DEP_1) | instskip(SKIP_1) | instid1(VALU_DEP_1)
	v_cndmask_b32_e64 v2, 0xff800000, v21, s9
	v_cmp_eq_u32_e64 s9, 0, v45
	v_cndmask_b32_e64 v44, 0x7f800001, v2, s9
; %bb.165:                              ;   in Loop: Header=BB0_130 Depth=3
	s_or_b32 exec_lo, exec_lo, s25
.LBB0_166:                              ;   in Loop: Header=BB0_130 Depth=3
	s_delay_alu instid0(SALU_CYCLE_1)
	s_or_b32 exec_lo, exec_lo, s24
.LBB0_167:                              ;   in Loop: Header=BB0_130 Depth=3
	s_delay_alu instid0(SALU_CYCLE_1) | instskip(NEXT) | instid1(VALU_DEP_1)
	s_or_b32 exec_lo, exec_lo, s23
	v_dual_max_num_f32 v2, v44, v44 :: v_dual_max_num_f32 v30, v30, v30
                                        ; implicit-def: $vgpr45
	s_delay_alu instid0(VALU_DEP_1)
	v_max_num_f32_e32 v30, v30, v2
                                        ; implicit-def: $vgpr2
.LBB0_168:                              ;   in Loop: Header=BB0_130 Depth=3
	s_and_not1_saveexec_b32 s9, s22
	s_cbranch_execz .LBB0_190
; %bb.169:                              ;   in Loop: Header=BB0_130 Depth=3
	v_dual_mov_b32 v44, 0 :: v_dual_mov_b32 v30, 0
	s_and_saveexec_b32 s22, vcc_lo
	s_cbranch_execz .LBB0_179
; %bb.170:                              ;   in Loop: Header=BB0_130 Depth=3
	v_bfrev_b32_e32 v30, 1
	s_mov_b32 s23, exec_lo
	v_cmpx_ne_u16_e32 0xff80, v45
	s_cbranch_execz .LBB0_178
; %bb.171:                              ;   in Loop: Header=BB0_130 Depth=3
	v_and_b32_e32 v30, 0x7c, v16
	v_and_b32_e32 v46, 3, v16
	s_delay_alu instid0(VALU_DEP_2) | instskip(SKIP_1) | instid1(SALU_CYCLE_1)
	v_cmp_ne_u32_e32 vcc_lo, 0x7c, v30
                                        ; implicit-def: $vgpr30
	s_and_saveexec_b32 s24, vcc_lo
	s_xor_b32 s24, exec_lo, s24
	s_cbranch_execz .LBB0_175
; %bb.172:                              ;   in Loop: Header=BB0_130 Depth=3
	v_bfe_u32 v30, v16, 2, 5
	s_mov_b32 s25, exec_lo
	s_delay_alu instid0(VALU_DEP_1)
	v_cmpx_eq_u32_e32 0, v30
; %bb.173:                              ;   in Loop: Header=BB0_130 Depth=3
	v_clz_i32_u32_e32 v30, v46
	s_delay_alu instid0(VALU_DEP_1) | instskip(NEXT) | instid1(VALU_DEP_1)
	v_min_u32_e32 v30, 32, v30
	v_subrev_nc_u32_e32 v45, 29, v30
	v_sub_nc_u32_e32 v30, 30, v30
	s_delay_alu instid0(VALU_DEP_2) | instskip(NEXT) | instid1(VALU_DEP_1)
	v_lshlrev_b64_e32 v[46:47], v45, v[16:17]
	v_and_b32_e32 v46, 3, v46
; %bb.174:                              ;   in Loop: Header=BB0_130 Depth=3
	s_or_b32 exec_lo, exec_lo, s25
	v_lshlrev_b32_e32 v17, 24, v16
                                        ; implicit-def: $vgpr45
	s_delay_alu instid0(VALU_DEP_1) | instskip(NEXT) | instid1(VALU_DEP_1)
	v_and_b32_e32 v17, 0x80000000, v17
	v_lshl_add_u32 v17, v30, 23, v17
	s_delay_alu instid0(VALU_DEP_1) | instskip(NEXT) | instid1(VALU_DEP_1)
	v_lshl_or_b32 v17, v46, 21, v17
                                        ; implicit-def: $vgpr46
	v_add_nc_u32_e32 v30, 0x38000000, v17
.LBB0_175:                              ;   in Loop: Header=BB0_130 Depth=3
	s_and_not1_saveexec_b32 s24, s24
; %bb.176:                              ;   in Loop: Header=BB0_130 Depth=3
	v_cmp_lt_i16_e32 vcc_lo, -1, v45
	v_cndmask_b32_e32 v17, 0xff800000, v21, vcc_lo
	v_cmp_eq_u32_e32 vcc_lo, 0, v46
	s_delay_alu instid0(VALU_DEP_2)
	v_cndmask_b32_e32 v30, 0x7f800001, v17, vcc_lo
; %bb.177:                              ;   in Loop: Header=BB0_130 Depth=3
	s_or_b32 exec_lo, exec_lo, s24
.LBB0_178:                              ;   in Loop: Header=BB0_130 Depth=3
	s_delay_alu instid0(SALU_CYCLE_1)
	s_or_b32 exec_lo, exec_lo, s23
.LBB0_179:                              ;   in Loop: Header=BB0_130 Depth=3
	s_delay_alu instid0(SALU_CYCLE_1) | instskip(NEXT) | instid1(SALU_CYCLE_1)
	s_or_b32 exec_lo, exec_lo, s22
	s_mov_b32 s22, exec_lo
	v_cmpx_ne_u16_e32 0, v2
	s_cbranch_execz .LBB0_189
; %bb.180:                              ;   in Loop: Header=BB0_130 Depth=3
	v_bfrev_b32_e32 v44, 1
	s_mov_b32 s23, exec_lo
	v_cmpx_ne_u16_e32 0xff80, v2
	s_cbranch_execz .LBB0_188
; %bb.181:                              ;   in Loop: Header=BB0_130 Depth=3
	v_and_b32_e32 v44, 0x7c, v4
	v_and_b32_e32 v17, 3, v4
	s_delay_alu instid0(VALU_DEP_2) | instskip(SKIP_1) | instid1(SALU_CYCLE_1)
	v_cmp_ne_u32_e32 vcc_lo, 0x7c, v44
                                        ; implicit-def: $vgpr44
	s_and_saveexec_b32 s24, vcc_lo
	s_xor_b32 s24, exec_lo, s24
	s_cbranch_execz .LBB0_185
; %bb.182:                              ;   in Loop: Header=BB0_130 Depth=3
	v_bfe_u32 v2, v4, 2, 5
	s_mov_b32 s25, exec_lo
	s_delay_alu instid0(VALU_DEP_1)
	v_cmpx_eq_u32_e32 0, v2
; %bb.183:                              ;   in Loop: Header=BB0_130 Depth=3
	v_clz_i32_u32_e32 v2, v17
	s_delay_alu instid0(VALU_DEP_1) | instskip(NEXT) | instid1(VALU_DEP_1)
	v_min_u32_e32 v2, 32, v2
	v_subrev_nc_u32_e32 v17, 29, v2
	s_delay_alu instid0(VALU_DEP_1) | instskip(NEXT) | instid1(VALU_DEP_1)
	v_lshlrev_b64_e32 v[44:45], v17, v[4:5]
	v_dual_sub_nc_u32 v2, 30, v2 :: v_dual_bitop2_b32 v17, 3, v44 bitop3:0x40
; %bb.184:                              ;   in Loop: Header=BB0_130 Depth=3
	s_or_b32 exec_lo, exec_lo, s25
	v_lshlrev_b32_e32 v5, 24, v4
	s_delay_alu instid0(VALU_DEP_1) | instskip(NEXT) | instid1(VALU_DEP_1)
	v_and_b32_e32 v5, 0x80000000, v5
	v_lshl_add_u32 v2, v2, 23, v5
	s_delay_alu instid0(VALU_DEP_1) | instskip(NEXT) | instid1(VALU_DEP_1)
	v_lshl_or_b32 v2, v17, 21, v2
                                        ; implicit-def: $vgpr17
	v_add_nc_u32_e32 v44, 0x38000000, v2
                                        ; implicit-def: $vgpr2
.LBB0_185:                              ;   in Loop: Header=BB0_130 Depth=3
	s_and_not1_saveexec_b32 s24, s24
; %bb.186:                              ;   in Loop: Header=BB0_130 Depth=3
	v_cmp_lt_i16_e32 vcc_lo, -1, v2
	v_cndmask_b32_e32 v2, 0xff800000, v21, vcc_lo
	v_cmp_eq_u32_e32 vcc_lo, 0, v17
	s_delay_alu instid0(VALU_DEP_2)
	v_cndmask_b32_e32 v44, 0x7f800001, v2, vcc_lo
; %bb.187:                              ;   in Loop: Header=BB0_130 Depth=3
	s_or_b32 exec_lo, exec_lo, s24
.LBB0_188:                              ;   in Loop: Header=BB0_130 Depth=3
	s_delay_alu instid0(SALU_CYCLE_1)
	s_or_b32 exec_lo, exec_lo, s23
.LBB0_189:                              ;   in Loop: Header=BB0_130 Depth=3
	s_delay_alu instid0(SALU_CYCLE_1) | instskip(NEXT) | instid1(VALU_DEP_1)
	s_or_b32 exec_lo, exec_lo, s22
	v_dual_max_num_f32 v2, v44, v44 :: v_dual_max_num_f32 v5, v30, v30
	s_delay_alu instid0(VALU_DEP_1)
	v_min_num_f32_e32 v30, v5, v2
.LBB0_190:                              ;   in Loop: Header=BB0_130 Depth=3
	s_or_b32 exec_lo, exec_lo, s9
	s_delay_alu instid0(VALU_DEP_1) | instskip(SKIP_4) | instid1(VALU_DEP_3)
	v_and_b32_e32 v46, 0x7f800000, v30
	v_dual_mov_b32 v47, v55 :: v_dual_mov_b32 v45, v55
	v_and_b32_e32 v44, 0x7fffff, v30
	v_lshrrev_b32_e32 v2, 24, v30
                                        ; implicit-def: $vgpr73
	s_mov_b32 s9, exec_lo
	v_cmpx_ne_u64_e32 0x7f800000, v[46:47]
	s_xor_b32 s22, exec_lo, s9
	s_cbranch_execz .LBB0_204
; %bb.191:                              ;   in Loop: Header=BB0_130 Depth=3
	v_and_b32_e32 v46, 0x7fffffff, v30
	v_mov_b32_e32 v47, v55
	v_and_b32_e32 v2, 0x80, v2
                                        ; implicit-def: $vgpr73
	s_mov_b32 s9, exec_lo
	s_delay_alu instid0(VALU_DEP_2)
	v_cmpx_gt_u64_e32 0x47600001, v[46:47]
	s_xor_b32 s23, exec_lo, s9
	s_cbranch_execz .LBB0_201
; %bb.192:                              ;   in Loop: Header=BB0_130 Depth=3
	v_mov_b32_e32 v73, 0
	s_mov_b32 s24, exec_lo
	v_cmpx_ne_u32_e32 0, v30
	s_cbranch_execz .LBB0_200
; %bb.193:                              ;   in Loop: Header=BB0_130 Depth=3
	v_bfe_u32 v5, v30, 23, 8
	v_or_b32_e32 v73, 0x800000, v44
	s_delay_alu instid0(VALU_DEP_2) | instskip(SKIP_1) | instid1(VALU_DEP_2)
	v_sub_nc_u32_e32 v17, 0x71, v5
	v_cmp_gt_u32_e32 vcc_lo, 0x72, v5
	v_cndmask_b32_e32 v17, 0, v17, vcc_lo
	v_cmp_eq_u32_e32 vcc_lo, 0, v5
	s_delay_alu instid0(VALU_DEP_2) | instskip(NEXT) | instid1(VALU_DEP_1)
	v_cndmask_b32_e64 v17, v17, 0x70, vcc_lo
	v_dual_cndmask_b32 v44, v73, v44, vcc_lo :: v_dual_add_nc_u32 v30, 21, v17
	s_delay_alu instid0(VALU_DEP_1) | instskip(SKIP_1) | instid1(VALU_DEP_1)
	v_lshlrev_b64_e64 v[46:47], v30, -1
	v_add_nc_u32_e32 v30, 20, v17
	v_lshlrev_b64_e64 v[78:79], v30, 1
	s_delay_alu instid0(VALU_DEP_3) | instskip(SKIP_2) | instid1(VALU_DEP_1)
	v_bfi_b32 v46, v46, 0, v44
	v_lshrrev_b64 v[44:45], v17, v[44:45]
	v_bfi_b32 v47, v47, 0, 0
	v_cmp_eq_u64_e64 s9, v[46:47], v[78:79]
	s_delay_alu instid0(VALU_DEP_3)
	v_mov_b64_e32 v[46:47], v[44:45]
	s_and_saveexec_b32 s25, s9
; %bb.194:                              ;   in Loop: Header=BB0_130 Depth=3
	v_bfe_u32 v46, v44, 21, 1
	v_mov_b32_e32 v47, v55
	s_delay_alu instid0(VALU_DEP_1) | instskip(NEXT) | instid1(VALU_DEP_1)
	v_add_nc_u64_e32 v[46:47], v[44:45], v[46:47]
	v_add_nc_u64_e32 v[46:47], -1, v[46:47]
; %bb.195:                              ;   in Loop: Header=BB0_130 Depth=3
	s_or_b32 exec_lo, exec_lo, s25
	v_add_nc_u32_e32 v5, 0xffffff81, v5
	v_lshrrev_b32_e32 v30, 23, v44
	s_mov_b32 s9, exec_lo
	v_mov_b32_e32 v45, v55
	s_delay_alu instid0(VALU_DEP_3) | instskip(NEXT) | instid1(VALU_DEP_1)
	v_cndmask_b32_e64 v5, v5, 0xffffff82, vcc_lo
	v_add3_u32 v17, v17, v5, v30
	v_and_b32_e32 v5, 0x1fffff, v46
	s_delay_alu instid0(VALU_DEP_1) | instskip(NEXT) | instid1(VALU_DEP_1)
	v_dual_add_nc_u32 v30, 14, v17 :: v_dual_add_nc_u32 v44, v5, v44
                                        ; implicit-def: $vgpr5
	v_cmpx_ne_u32_e32 0, v30
	s_xor_b32 s9, exec_lo, s9
; %bb.196:                              ;   in Loop: Header=BB0_130 Depth=3
	s_delay_alu instid0(VALU_DEP_2) | instskip(SKIP_2) | instid1(VALU_DEP_2)
	v_cmp_lt_u64_e32 vcc_lo, 0xffffff, v[44:45]
	v_add_nc_u32_e32 v5, 15, v17
	v_cndmask_b32_e64 v17, 0, 1, vcc_lo
	v_cndmask_b32_e32 v5, v30, v5, vcc_lo
	s_delay_alu instid0(VALU_DEP_2)
	v_lshrrev_b64 v[44:45], v17, v[44:45]
; %bb.197:                              ;   in Loop: Header=BB0_130 Depth=3
	s_and_not1_saveexec_b32 s9, s9
; %bb.198:                              ;   in Loop: Header=BB0_130 Depth=3
	s_delay_alu instid0(VALU_DEP_1)
	v_bfe_u32 v5, v44, 23, 1
; %bb.199:                              ;   in Loop: Header=BB0_130 Depth=3
	s_or_b32 exec_lo, exec_lo, s9
	s_delay_alu instid0(VALU_DEP_2) | instskip(NEXT) | instid1(VALU_DEP_2)
	v_lshrrev_b64 v[44:45], 21, v[44:45]
	v_cmp_gt_i32_e32 vcc_lo, 32, v5
	v_min_i32_e32 v17, 31, v5
	v_cmp_eq_u32_e64 s9, 0, v5
	s_delay_alu instid0(VALU_DEP_2) | instskip(SKIP_1) | instid1(VALU_DEP_2)
	v_dual_cndmask_b32 v44, 3, v44 :: v_dual_lshlrev_b32 v17, 2, v17
	v_cndmask_b32_e32 v45, 0, v45, vcc_lo
	v_and_b32_e32 v17, 0xfc, v17
	s_delay_alu instid0(VALU_DEP_2) | instskip(NEXT) | instid1(VALU_DEP_2)
	v_cmp_eq_u64_e32 vcc_lo, 0, v[44:45]
	v_and_or_b32 v5, v44, 3, v17
	s_and_b32 s9, s9, vcc_lo
	s_delay_alu instid0(VALU_DEP_1) | instid1(SALU_CYCLE_1)
	v_cndmask_b32_e64 v5, v5, 0, s9
	s_delay_alu instid0(VALU_DEP_1)
	v_or_b32_e32 v73, v5, v2
.LBB0_200:                              ;   in Loop: Header=BB0_130 Depth=3
	s_or_b32 exec_lo, exec_lo, s24
                                        ; implicit-def: $vgpr2
.LBB0_201:                              ;   in Loop: Header=BB0_130 Depth=3
	s_and_not1_saveexec_b32 s9, s23
; %bb.202:                              ;   in Loop: Header=BB0_130 Depth=3
	v_or_b32_e32 v73, 0x7b, v2
; %bb.203:                              ;   in Loop: Header=BB0_130 Depth=3
	s_or_b32 exec_lo, exec_lo, s9
                                        ; implicit-def: $vgpr30
                                        ; implicit-def: $vgpr44_vgpr45
                                        ; implicit-def: $vgpr2
.LBB0_204:                              ;   in Loop: Header=BB0_130 Depth=3
	s_and_not1_saveexec_b32 s9, s22
	s_cbranch_execz .LBB0_210
; %bb.205:                              ;   in Loop: Header=BB0_130 Depth=3
	s_mov_b32 s22, exec_lo
                                        ; implicit-def: $vgpr73
	v_cmpx_ne_u64_e32 0, v[44:45]
	s_xor_b32 s22, exec_lo, s22
; %bb.206:                              ;   in Loop: Header=BB0_130 Depth=3
	v_or_b32_e32 v73, 0x7f, v2
                                        ; implicit-def: $vgpr30
; %bb.207:                              ;   in Loop: Header=BB0_130 Depth=3
	s_and_not1_saveexec_b32 s22, s22
; %bb.208:                              ;   in Loop: Header=BB0_130 Depth=3
	v_cmp_lt_i32_e32 vcc_lo, -1, v30
	v_cndmask_b32_e32 v73, 0xfc, v58, vcc_lo
; %bb.209:                              ;   in Loop: Header=BB0_130 Depth=3
	s_or_b32 exec_lo, exec_lo, s22
.LBB0_210:                              ;   in Loop: Header=BB0_130 Depth=3
	s_delay_alu instid0(SALU_CYCLE_1) | instskip(SKIP_2) | instid1(VALU_DEP_2)
	s_or_b32 exec_lo, exec_lo, s9
	v_lshrrev_b16 v46, 8, v16
	v_lshrrev_b16 v44, 8, v4
                                        ; implicit-def: $vgpr5
	v_and_b32_e32 v17, 0xffff, v46
	v_cmp_ne_u16_e32 vcc_lo, 0, v46
	s_and_saveexec_b32 s9, s6
	s_delay_alu instid0(SALU_CYCLE_1)
	s_xor_b32 s22, exec_lo, s9
	s_cbranch_execz .LBB0_232
; %bb.211:                              ;   in Loop: Header=BB0_130 Depth=3
	v_dual_mov_b32 v5, 0 :: v_dual_mov_b32 v2, 0
	s_and_saveexec_b32 s23, vcc_lo
	s_cbranch_execz .LBB0_221
; %bb.212:                              ;   in Loop: Header=BB0_130 Depth=3
	v_bfrev_b32_e32 v2, 1
	s_mov_b32 s24, exec_lo
	v_cmpx_ne_u16_e32 0x80, v46
	s_cbranch_execz .LBB0_220
; %bb.213:                              ;   in Loop: Header=BB0_130 Depth=3
	v_and_b32_e32 v2, 0x7c, v17
	v_and_b32_e32 v30, 3, v17
	s_delay_alu instid0(VALU_DEP_2) | instskip(SKIP_1) | instid1(SALU_CYCLE_1)
	v_cmp_ne_u32_e64 s9, 0x7c, v2
                                        ; implicit-def: $vgpr2
	s_and_saveexec_b32 s25, s9
	s_xor_b32 s25, exec_lo, s25
	s_cbranch_execz .LBB0_217
; %bb.214:                              ;   in Loop: Header=BB0_130 Depth=3
	v_bfe_u32 v2, v17, 2, 5
	s_mov_b32 s26, exec_lo
	s_delay_alu instid0(VALU_DEP_1)
	v_cmpx_eq_u32_e32 0, v2
	s_cbranch_execz .LBB0_216
; %bb.215:                              ;   in Loop: Header=BB0_130 Depth=3
	v_clz_i32_u32_e32 v2, v30
	s_delay_alu instid0(VALU_DEP_1) | instskip(SKIP_1) | instid1(VALU_DEP_2)
	v_min_u32_e32 v2, 32, v2
	v_mov_b32_e32 v47, v55
	v_subrev_nc_u32_e32 v17, 29, v2
	v_sub_nc_u32_e32 v2, 30, v2
	s_delay_alu instid0(VALU_DEP_2) | instskip(NEXT) | instid1(VALU_DEP_1)
	v_lshlrev_b64_e32 v[46:47], v17, v[46:47]
	v_and_b32_e32 v30, 3, v46
.LBB0_216:                              ;   in Loop: Header=BB0_130 Depth=3
	s_or_b32 exec_lo, exec_lo, s26
	v_lshlrev_b32_e32 v17, 16, v16
	s_delay_alu instid0(VALU_DEP_1) | instskip(NEXT) | instid1(VALU_DEP_1)
	v_and_b32_e32 v17, 0x80000000, v17
	v_lshl_add_u32 v2, v2, 23, v17
	s_delay_alu instid0(VALU_DEP_1) | instskip(NEXT) | instid1(VALU_DEP_1)
	v_lshl_or_b32 v2, v30, 21, v2
                                        ; implicit-def: $vgpr30
	v_add_nc_u32_e32 v2, 0x38000000, v2
.LBB0_217:                              ;   in Loop: Header=BB0_130 Depth=3
	s_and_not1_saveexec_b32 s25, s25
; %bb.218:                              ;   in Loop: Header=BB0_130 Depth=3
	v_cmp_lt_i16_e64 s9, -1, v16
	s_delay_alu instid0(VALU_DEP_1) | instskip(SKIP_1) | instid1(VALU_DEP_1)
	v_cndmask_b32_e64 v2, 0xff800000, v21, s9
	v_cmp_eq_u32_e64 s9, 0, v30
	v_cndmask_b32_e64 v2, 0x7f800001, v2, s9
; %bb.219:                              ;   in Loop: Header=BB0_130 Depth=3
	s_or_b32 exec_lo, exec_lo, s25
.LBB0_220:                              ;   in Loop: Header=BB0_130 Depth=3
	s_delay_alu instid0(SALU_CYCLE_1)
	s_or_b32 exec_lo, exec_lo, s24
.LBB0_221:                              ;   in Loop: Header=BB0_130 Depth=3
	s_delay_alu instid0(SALU_CYCLE_1) | instskip(NEXT) | instid1(SALU_CYCLE_1)
	s_or_b32 exec_lo, exec_lo, s23
	s_mov_b32 s23, exec_lo
	v_cmpx_ne_u16_e32 0, v44
	s_cbranch_execz .LBB0_231
; %bb.222:                              ;   in Loop: Header=BB0_130 Depth=3
	v_bfrev_b32_e32 v5, 1
	s_mov_b32 s24, exec_lo
	v_cmpx_ne_u16_e32 0x80, v44
	s_cbranch_execz .LBB0_230
; %bb.223:                              ;   in Loop: Header=BB0_130 Depth=3
	v_and_b32_e32 v30, 0xffff, v44
	s_delay_alu instid0(VALU_DEP_1) | instskip(SKIP_1) | instid1(VALU_DEP_2)
	v_and_b32_e32 v5, 0x7c, v30
	v_and_b32_e32 v17, 3, v30
	v_cmp_ne_u32_e64 s9, 0x7c, v5
                                        ; implicit-def: $vgpr5
	s_and_saveexec_b32 s25, s9
	s_delay_alu instid0(SALU_CYCLE_1)
	s_xor_b32 s25, exec_lo, s25
	s_cbranch_execz .LBB0_227
; %bb.224:                              ;   in Loop: Header=BB0_130 Depth=3
	v_bfe_u32 v5, v30, 2, 5
	s_mov_b32 s26, exec_lo
	s_delay_alu instid0(VALU_DEP_1)
	v_cmpx_eq_u32_e32 0, v5
	s_cbranch_execz .LBB0_226
; %bb.225:                              ;   in Loop: Header=BB0_130 Depth=3
	v_clz_i32_u32_e32 v5, v17
	s_delay_alu instid0(VALU_DEP_1) | instskip(SKIP_1) | instid1(VALU_DEP_2)
	v_min_u32_e32 v5, 32, v5
	v_mov_b32_e32 v45, v55
	v_subrev_nc_u32_e32 v17, 29, v5
	v_sub_nc_u32_e32 v5, 30, v5
	s_delay_alu instid0(VALU_DEP_2) | instskip(NEXT) | instid1(VALU_DEP_1)
	v_lshlrev_b64_e32 v[44:45], v17, v[44:45]
	v_and_b32_e32 v17, 3, v44
.LBB0_226:                              ;   in Loop: Header=BB0_130 Depth=3
	s_or_b32 exec_lo, exec_lo, s26
	v_lshlrev_b32_e32 v30, 16, v4
	s_delay_alu instid0(VALU_DEP_1) | instskip(NEXT) | instid1(VALU_DEP_1)
	v_and_b32_e32 v30, 0x80000000, v30
	v_lshl_add_u32 v5, v5, 23, v30
	s_delay_alu instid0(VALU_DEP_1) | instskip(NEXT) | instid1(VALU_DEP_1)
	v_lshl_or_b32 v5, v17, 21, v5
                                        ; implicit-def: $vgpr17
	v_add_nc_u32_e32 v5, 0x38000000, v5
.LBB0_227:                              ;   in Loop: Header=BB0_130 Depth=3
	s_and_not1_saveexec_b32 s25, s25
; %bb.228:                              ;   in Loop: Header=BB0_130 Depth=3
	v_cmp_lt_i16_e64 s9, -1, v4
	s_delay_alu instid0(VALU_DEP_1) | instskip(SKIP_1) | instid1(VALU_DEP_1)
	v_cndmask_b32_e64 v5, 0xff800000, v21, s9
	v_cmp_eq_u32_e64 s9, 0, v17
	v_cndmask_b32_e64 v5, 0x7f800001, v5, s9
; %bb.229:                              ;   in Loop: Header=BB0_130 Depth=3
	s_or_b32 exec_lo, exec_lo, s25
.LBB0_230:                              ;   in Loop: Header=BB0_130 Depth=3
	s_delay_alu instid0(SALU_CYCLE_1)
	s_or_b32 exec_lo, exec_lo, s24
.LBB0_231:                              ;   in Loop: Header=BB0_130 Depth=3
	s_delay_alu instid0(SALU_CYCLE_1) | instskip(NEXT) | instid1(VALU_DEP_1)
	s_or_b32 exec_lo, exec_lo, s23
	v_dual_max_num_f32 v5, v5, v5 :: v_dual_max_num_f32 v2, v2, v2
                                        ; implicit-def: $vgpr44
                                        ; implicit-def: $vgpr46
                                        ; implicit-def: $vgpr17
	s_delay_alu instid0(VALU_DEP_1)
	v_max_num_f32_e32 v5, v2, v5
.LBB0_232:                              ;   in Loop: Header=BB0_130 Depth=3
	s_and_not1_saveexec_b32 s9, s22
	s_cbranch_execz .LBB0_254
; %bb.233:                              ;   in Loop: Header=BB0_130 Depth=3
	v_dual_mov_b32 v5, 0 :: v_dual_mov_b32 v2, 0
	s_and_saveexec_b32 s22, vcc_lo
	s_cbranch_execz .LBB0_243
; %bb.234:                              ;   in Loop: Header=BB0_130 Depth=3
	v_bfrev_b32_e32 v2, 1
	s_mov_b32 s23, exec_lo
	v_cmpx_ne_u16_e32 0x80, v46
	s_cbranch_execz .LBB0_242
; %bb.235:                              ;   in Loop: Header=BB0_130 Depth=3
	v_and_b32_e32 v2, 0x7c, v17
	v_and_b32_e32 v30, 3, v17
	s_delay_alu instid0(VALU_DEP_2) | instskip(SKIP_1) | instid1(SALU_CYCLE_1)
	v_cmp_ne_u32_e32 vcc_lo, 0x7c, v2
                                        ; implicit-def: $vgpr2
	s_and_saveexec_b32 s24, vcc_lo
	s_xor_b32 s24, exec_lo, s24
	s_cbranch_execz .LBB0_239
; %bb.236:                              ;   in Loop: Header=BB0_130 Depth=3
	v_bfe_u32 v2, v17, 2, 5
	s_mov_b32 s25, exec_lo
	s_delay_alu instid0(VALU_DEP_1)
	v_cmpx_eq_u32_e32 0, v2
	s_cbranch_execz .LBB0_238
; %bb.237:                              ;   in Loop: Header=BB0_130 Depth=3
	v_clz_i32_u32_e32 v2, v30
	s_delay_alu instid0(VALU_DEP_1) | instskip(SKIP_1) | instid1(VALU_DEP_2)
	v_min_u32_e32 v2, 32, v2
	v_mov_b32_e32 v47, v55
	v_subrev_nc_u32_e32 v17, 29, v2
	v_sub_nc_u32_e32 v2, 30, v2
	s_delay_alu instid0(VALU_DEP_2) | instskip(NEXT) | instid1(VALU_DEP_1)
	v_lshlrev_b64_e32 v[46:47], v17, v[46:47]
	v_and_b32_e32 v30, 3, v46
.LBB0_238:                              ;   in Loop: Header=BB0_130 Depth=3
	s_or_b32 exec_lo, exec_lo, s25
	v_lshlrev_b32_e32 v17, 16, v16
	s_delay_alu instid0(VALU_DEP_1) | instskip(NEXT) | instid1(VALU_DEP_1)
	v_and_b32_e32 v17, 0x80000000, v17
	v_lshl_add_u32 v2, v2, 23, v17
	s_delay_alu instid0(VALU_DEP_1) | instskip(NEXT) | instid1(VALU_DEP_1)
	v_lshl_or_b32 v2, v30, 21, v2
                                        ; implicit-def: $vgpr30
	v_add_nc_u32_e32 v2, 0x38000000, v2
.LBB0_239:                              ;   in Loop: Header=BB0_130 Depth=3
	s_and_not1_saveexec_b32 s24, s24
; %bb.240:                              ;   in Loop: Header=BB0_130 Depth=3
	v_cmp_lt_i16_e32 vcc_lo, -1, v16
	v_cndmask_b32_e32 v2, 0xff800000, v21, vcc_lo
	v_cmp_eq_u32_e32 vcc_lo, 0, v30
	s_delay_alu instid0(VALU_DEP_2)
	v_cndmask_b32_e32 v2, 0x7f800001, v2, vcc_lo
; %bb.241:                              ;   in Loop: Header=BB0_130 Depth=3
	s_or_b32 exec_lo, exec_lo, s24
.LBB0_242:                              ;   in Loop: Header=BB0_130 Depth=3
	s_delay_alu instid0(SALU_CYCLE_1)
	s_or_b32 exec_lo, exec_lo, s23
.LBB0_243:                              ;   in Loop: Header=BB0_130 Depth=3
	s_delay_alu instid0(SALU_CYCLE_1) | instskip(NEXT) | instid1(SALU_CYCLE_1)
	s_or_b32 exec_lo, exec_lo, s22
	s_mov_b32 s22, exec_lo
	v_cmpx_ne_u16_e32 0, v44
	s_cbranch_execz .LBB0_253
; %bb.244:                              ;   in Loop: Header=BB0_130 Depth=3
	v_bfrev_b32_e32 v5, 1
	s_mov_b32 s23, exec_lo
	v_cmpx_ne_u16_e32 0x80, v44
	s_cbranch_execz .LBB0_252
; %bb.245:                              ;   in Loop: Header=BB0_130 Depth=3
	v_and_b32_e32 v30, 0xffff, v44
	s_delay_alu instid0(VALU_DEP_1) | instskip(SKIP_1) | instid1(VALU_DEP_2)
	v_and_b32_e32 v5, 0x7c, v30
	v_and_b32_e32 v17, 3, v30
	v_cmp_ne_u32_e32 vcc_lo, 0x7c, v5
                                        ; implicit-def: $vgpr5
	s_and_saveexec_b32 s24, vcc_lo
	s_delay_alu instid0(SALU_CYCLE_1)
	s_xor_b32 s24, exec_lo, s24
	s_cbranch_execz .LBB0_249
; %bb.246:                              ;   in Loop: Header=BB0_130 Depth=3
	v_bfe_u32 v5, v30, 2, 5
	s_mov_b32 s25, exec_lo
	s_delay_alu instid0(VALU_DEP_1)
	v_cmpx_eq_u32_e32 0, v5
	s_cbranch_execz .LBB0_248
; %bb.247:                              ;   in Loop: Header=BB0_130 Depth=3
	v_clz_i32_u32_e32 v5, v17
	s_delay_alu instid0(VALU_DEP_1) | instskip(SKIP_1) | instid1(VALU_DEP_2)
	v_min_u32_e32 v5, 32, v5
	v_mov_b32_e32 v45, v55
	v_subrev_nc_u32_e32 v17, 29, v5
	v_sub_nc_u32_e32 v5, 30, v5
	s_delay_alu instid0(VALU_DEP_2) | instskip(NEXT) | instid1(VALU_DEP_1)
	v_lshlrev_b64_e32 v[44:45], v17, v[44:45]
	v_and_b32_e32 v17, 3, v44
.LBB0_248:                              ;   in Loop: Header=BB0_130 Depth=3
	s_or_b32 exec_lo, exec_lo, s25
	v_lshlrev_b32_e32 v30, 16, v4
	s_delay_alu instid0(VALU_DEP_1) | instskip(NEXT) | instid1(VALU_DEP_1)
	v_and_b32_e32 v30, 0x80000000, v30
	v_lshl_add_u32 v5, v5, 23, v30
	s_delay_alu instid0(VALU_DEP_1) | instskip(NEXT) | instid1(VALU_DEP_1)
	v_lshl_or_b32 v5, v17, 21, v5
                                        ; implicit-def: $vgpr17
	v_add_nc_u32_e32 v5, 0x38000000, v5
.LBB0_249:                              ;   in Loop: Header=BB0_130 Depth=3
	s_and_not1_saveexec_b32 s24, s24
; %bb.250:                              ;   in Loop: Header=BB0_130 Depth=3
	v_cmp_lt_i16_e32 vcc_lo, -1, v4
	v_cndmask_b32_e32 v5, 0xff800000, v21, vcc_lo
	v_cmp_eq_u32_e32 vcc_lo, 0, v17
	s_delay_alu instid0(VALU_DEP_2)
	v_cndmask_b32_e32 v5, 0x7f800001, v5, vcc_lo
; %bb.251:                              ;   in Loop: Header=BB0_130 Depth=3
	s_or_b32 exec_lo, exec_lo, s24
.LBB0_252:                              ;   in Loop: Header=BB0_130 Depth=3
	s_delay_alu instid0(SALU_CYCLE_1)
	s_or_b32 exec_lo, exec_lo, s23
.LBB0_253:                              ;   in Loop: Header=BB0_130 Depth=3
	s_delay_alu instid0(SALU_CYCLE_1) | instskip(NEXT) | instid1(VALU_DEP_1)
	s_or_b32 exec_lo, exec_lo, s22
	v_dual_max_num_f32 v5, v5, v5 :: v_dual_max_num_f32 v2, v2, v2
	s_delay_alu instid0(VALU_DEP_1)
	v_min_num_f32_e32 v5, v2, v5
.LBB0_254:                              ;   in Loop: Header=BB0_130 Depth=3
	s_or_b32 exec_lo, exec_lo, s9
	s_delay_alu instid0(VALU_DEP_1) | instskip(SKIP_4) | instid1(VALU_DEP_3)
	v_and_b32_e32 v46, 0x7f800000, v5
	v_dual_mov_b32 v47, v55 :: v_dual_mov_b32 v45, v55
	v_and_b32_e32 v44, 0x7fffff, v5
	v_lshrrev_b32_e32 v2, 24, v5
                                        ; implicit-def: $vgpr74
	s_mov_b32 s9, exec_lo
	v_cmpx_ne_u64_e32 0x7f800000, v[46:47]
	s_xor_b32 s22, exec_lo, s9
	s_cbranch_execz .LBB0_268
; %bb.255:                              ;   in Loop: Header=BB0_130 Depth=3
	v_and_b32_e32 v46, 0x7fffffff, v5
	v_mov_b32_e32 v47, v55
	v_and_b32_e32 v2, 0x80, v2
                                        ; implicit-def: $vgpr74
	s_mov_b32 s9, exec_lo
	s_delay_alu instid0(VALU_DEP_2)
	v_cmpx_gt_u64_e32 0x47600001, v[46:47]
	s_xor_b32 s23, exec_lo, s9
	s_cbranch_execz .LBB0_265
; %bb.256:                              ;   in Loop: Header=BB0_130 Depth=3
	v_mov_b32_e32 v74, 0
	s_mov_b32 s24, exec_lo
	v_cmpx_ne_u32_e32 0, v5
	s_cbranch_execz .LBB0_264
; %bb.257:                              ;   in Loop: Header=BB0_130 Depth=3
	v_bfe_u32 v5, v5, 23, 8
	v_or_b32_e32 v74, 0x800000, v44
	s_delay_alu instid0(VALU_DEP_2) | instskip(SKIP_1) | instid1(VALU_DEP_2)
	v_sub_nc_u32_e32 v17, 0x71, v5
	v_cmp_gt_u32_e32 vcc_lo, 0x72, v5
	v_cndmask_b32_e32 v17, 0, v17, vcc_lo
	v_cmp_eq_u32_e32 vcc_lo, 0, v5
	s_delay_alu instid0(VALU_DEP_2) | instskip(NEXT) | instid1(VALU_DEP_1)
	v_cndmask_b32_e64 v17, v17, 0x70, vcc_lo
	v_dual_cndmask_b32 v44, v74, v44, vcc_lo :: v_dual_add_nc_u32 v30, 21, v17
	s_delay_alu instid0(VALU_DEP_1) | instskip(SKIP_1) | instid1(VALU_DEP_1)
	v_lshlrev_b64_e64 v[46:47], v30, -1
	v_add_nc_u32_e32 v30, 20, v17
	v_lshlrev_b64_e64 v[78:79], v30, 1
	s_delay_alu instid0(VALU_DEP_3) | instskip(SKIP_2) | instid1(VALU_DEP_1)
	v_bfi_b32 v46, v46, 0, v44
	v_lshrrev_b64 v[44:45], v17, v[44:45]
	v_bfi_b32 v47, v47, 0, 0
	v_cmp_eq_u64_e64 s9, v[46:47], v[78:79]
	s_delay_alu instid0(VALU_DEP_3)
	v_mov_b64_e32 v[46:47], v[44:45]
	s_and_saveexec_b32 s25, s9
; %bb.258:                              ;   in Loop: Header=BB0_130 Depth=3
	v_bfe_u32 v46, v44, 21, 1
	v_mov_b32_e32 v47, v55
	s_delay_alu instid0(VALU_DEP_1) | instskip(NEXT) | instid1(VALU_DEP_1)
	v_add_nc_u64_e32 v[46:47], v[44:45], v[46:47]
	v_add_nc_u64_e32 v[46:47], -1, v[46:47]
; %bb.259:                              ;   in Loop: Header=BB0_130 Depth=3
	s_or_b32 exec_lo, exec_lo, s25
	v_add_nc_u32_e32 v5, 0xffffff81, v5
	v_lshrrev_b32_e32 v30, 23, v44
	s_mov_b32 s9, exec_lo
	v_mov_b32_e32 v45, v55
	s_delay_alu instid0(VALU_DEP_3) | instskip(NEXT) | instid1(VALU_DEP_1)
	v_cndmask_b32_e64 v5, v5, 0xffffff82, vcc_lo
	v_add3_u32 v17, v17, v5, v30
	v_and_b32_e32 v5, 0x1fffff, v46
	s_delay_alu instid0(VALU_DEP_1) | instskip(NEXT) | instid1(VALU_DEP_1)
	v_dual_add_nc_u32 v30, 14, v17 :: v_dual_add_nc_u32 v44, v5, v44
                                        ; implicit-def: $vgpr5
	v_cmpx_ne_u32_e32 0, v30
	s_xor_b32 s9, exec_lo, s9
; %bb.260:                              ;   in Loop: Header=BB0_130 Depth=3
	s_delay_alu instid0(VALU_DEP_2) | instskip(SKIP_2) | instid1(VALU_DEP_2)
	v_cmp_lt_u64_e32 vcc_lo, 0xffffff, v[44:45]
	v_add_nc_u32_e32 v5, 15, v17
	v_cndmask_b32_e64 v17, 0, 1, vcc_lo
	v_cndmask_b32_e32 v5, v30, v5, vcc_lo
	s_delay_alu instid0(VALU_DEP_2)
	v_lshrrev_b64 v[44:45], v17, v[44:45]
; %bb.261:                              ;   in Loop: Header=BB0_130 Depth=3
	s_and_not1_saveexec_b32 s9, s9
; %bb.262:                              ;   in Loop: Header=BB0_130 Depth=3
	s_delay_alu instid0(VALU_DEP_1)
	v_bfe_u32 v5, v44, 23, 1
; %bb.263:                              ;   in Loop: Header=BB0_130 Depth=3
	s_or_b32 exec_lo, exec_lo, s9
	s_delay_alu instid0(VALU_DEP_2) | instskip(NEXT) | instid1(VALU_DEP_2)
	v_lshrrev_b64 v[44:45], 21, v[44:45]
	v_cmp_gt_i32_e32 vcc_lo, 32, v5
	v_min_i32_e32 v17, 31, v5
	v_cmp_eq_u32_e64 s9, 0, v5
	s_delay_alu instid0(VALU_DEP_2) | instskip(SKIP_1) | instid1(VALU_DEP_2)
	v_dual_cndmask_b32 v44, 3, v44 :: v_dual_lshlrev_b32 v17, 2, v17
	v_cndmask_b32_e32 v45, 0, v45, vcc_lo
	v_and_b32_e32 v17, 0xfc, v17
	s_delay_alu instid0(VALU_DEP_2) | instskip(NEXT) | instid1(VALU_DEP_2)
	v_cmp_eq_u64_e32 vcc_lo, 0, v[44:45]
	v_and_or_b32 v5, v44, 3, v17
	s_and_b32 s9, s9, vcc_lo
	s_delay_alu instid0(VALU_DEP_1) | instid1(SALU_CYCLE_1)
	v_cndmask_b32_e64 v5, v5, 0, s9
	s_delay_alu instid0(VALU_DEP_1)
	v_or_b32_e32 v74, v5, v2
.LBB0_264:                              ;   in Loop: Header=BB0_130 Depth=3
	s_or_b32 exec_lo, exec_lo, s24
                                        ; implicit-def: $vgpr2
.LBB0_265:                              ;   in Loop: Header=BB0_130 Depth=3
	s_and_not1_saveexec_b32 s9, s23
; %bb.266:                              ;   in Loop: Header=BB0_130 Depth=3
	v_or_b32_e32 v74, 0x7b, v2
; %bb.267:                              ;   in Loop: Header=BB0_130 Depth=3
	s_or_b32 exec_lo, exec_lo, s9
                                        ; implicit-def: $vgpr5
                                        ; implicit-def: $vgpr44_vgpr45
                                        ; implicit-def: $vgpr2
.LBB0_268:                              ;   in Loop: Header=BB0_130 Depth=3
	s_and_not1_saveexec_b32 s9, s22
	s_cbranch_execz .LBB0_274
; %bb.269:                              ;   in Loop: Header=BB0_130 Depth=3
	s_mov_b32 s22, exec_lo
                                        ; implicit-def: $vgpr74
	v_cmpx_ne_u64_e32 0, v[44:45]
	s_xor_b32 s22, exec_lo, s22
; %bb.270:                              ;   in Loop: Header=BB0_130 Depth=3
	v_or_b32_e32 v74, 0x7f, v2
                                        ; implicit-def: $vgpr5
; %bb.271:                              ;   in Loop: Header=BB0_130 Depth=3
	s_and_not1_saveexec_b32 s22, s22
; %bb.272:                              ;   in Loop: Header=BB0_130 Depth=3
	v_cmp_lt_i32_e32 vcc_lo, -1, v5
	v_cndmask_b32_e32 v74, 0xfc, v58, vcc_lo
; %bb.273:                              ;   in Loop: Header=BB0_130 Depth=3
	s_or_b32 exec_lo, exec_lo, s22
.LBB0_274:                              ;   in Loop: Header=BB0_130 Depth=3
	s_delay_alu instid0(SALU_CYCLE_1) | instskip(SKIP_2) | instid1(VALU_DEP_2)
	s_or_b32 exec_lo, exec_lo, s9
	v_lshrrev_b32_e32 v30, 16, v16
	v_lshrrev_b32_e32 v2, 16, v4
                                        ; implicit-def: $vgpr5
	v_and_b32_e32 v44, 0xff, v30
	s_delay_alu instid0(VALU_DEP_1) | instskip(SKIP_1) | instid1(SALU_CYCLE_1)
	v_cmp_ne_u16_e32 vcc_lo, 0, v44
	s_and_saveexec_b32 s9, s6
	s_xor_b32 s22, exec_lo, s9
	s_cbranch_execz .LBB0_296
; %bb.275:                              ;   in Loop: Header=BB0_130 Depth=3
	v_dual_mov_b32 v17, 0 :: v_dual_mov_b32 v5, 0
	s_and_saveexec_b32 s23, vcc_lo
	s_cbranch_execz .LBB0_285
; %bb.276:                              ;   in Loop: Header=BB0_130 Depth=3
	v_bfrev_b32_e32 v5, 1
	s_mov_b32 s24, exec_lo
	v_cmpx_ne_u16_e32 0x80, v44
	s_cbranch_execz .LBB0_284
; %bb.277:                              ;   in Loop: Header=BB0_130 Depth=3
	v_and_b32_e32 v5, 0x7c0000, v16
	v_bfe_u32 v44, v16, 16, 2
	s_delay_alu instid0(VALU_DEP_2) | instskip(SKIP_1) | instid1(SALU_CYCLE_1)
	v_cmp_ne_u32_e64 s9, 0x7c0000, v5
                                        ; implicit-def: $vgpr5
	s_and_saveexec_b32 s25, s9
	s_xor_b32 s25, exec_lo, s25
	s_cbranch_execz .LBB0_281
; %bb.278:                              ;   in Loop: Header=BB0_130 Depth=3
	v_bfe_u32 v5, v16, 18, 5
	s_mov_b32 s26, exec_lo
	s_delay_alu instid0(VALU_DEP_1)
	v_cmpx_eq_u32_e32 0, v5
; %bb.279:                              ;   in Loop: Header=BB0_130 Depth=3
	v_clz_i32_u32_e32 v5, v44
	s_delay_alu instid0(VALU_DEP_1) | instskip(NEXT) | instid1(VALU_DEP_1)
	v_min_u32_e32 v5, 32, v5
	v_subrev_nc_u32_e32 v44, 29, v5
	s_delay_alu instid0(VALU_DEP_1) | instskip(NEXT) | instid1(VALU_DEP_1)
	v_lshlrev_b64_e32 v[44:45], v44, v[30:31]
	v_dual_sub_nc_u32 v5, 30, v5 :: v_dual_bitop2_b32 v44, 3, v44 bitop3:0x40
; %bb.280:                              ;   in Loop: Header=BB0_130 Depth=3
	s_or_b32 exec_lo, exec_lo, s26
	v_lshlrev_b32_e32 v30, 24, v30
	s_delay_alu instid0(VALU_DEP_1) | instskip(NEXT) | instid1(VALU_DEP_1)
	v_and_b32_e32 v30, 0x80000000, v30
	v_lshl_add_u32 v5, v5, 23, v30
                                        ; implicit-def: $vgpr30
	s_delay_alu instid0(VALU_DEP_1) | instskip(NEXT) | instid1(VALU_DEP_1)
	v_lshl_or_b32 v5, v44, 21, v5
                                        ; implicit-def: $vgpr44
	v_add_nc_u32_e32 v5, 0x38000000, v5
.LBB0_281:                              ;   in Loop: Header=BB0_130 Depth=3
	s_and_not1_saveexec_b32 s25, s25
; %bb.282:                              ;   in Loop: Header=BB0_130 Depth=3
	v_bfe_i32 v5, v30, 0, 8
	s_delay_alu instid0(VALU_DEP_1) | instskip(NEXT) | instid1(VALU_DEP_1)
	v_cmp_lt_i16_e64 s9, -1, v5
	v_cndmask_b32_e64 v5, 0xff800000, v21, s9
	v_cmp_eq_u32_e64 s9, 0, v44
	s_delay_alu instid0(VALU_DEP_1)
	v_cndmask_b32_e64 v5, 0x7f800001, v5, s9
; %bb.283:                              ;   in Loop: Header=BB0_130 Depth=3
	s_or_b32 exec_lo, exec_lo, s25
.LBB0_284:                              ;   in Loop: Header=BB0_130 Depth=3
	s_delay_alu instid0(SALU_CYCLE_1)
	s_or_b32 exec_lo, exec_lo, s24
.LBB0_285:                              ;   in Loop: Header=BB0_130 Depth=3
	s_delay_alu instid0(SALU_CYCLE_1) | instskip(SKIP_2) | instid1(VALU_DEP_1)
	s_or_b32 exec_lo, exec_lo, s23
	v_lshrrev_b32_e32 v44, 16, v4
	s_mov_b32 s23, exec_lo
	v_and_b32_e32 v30, 0xff, v44
	s_delay_alu instid0(VALU_DEP_1)
	v_cmpx_ne_u16_e32 0, v30
	s_cbranch_execz .LBB0_295
; %bb.286:                              ;   in Loop: Header=BB0_130 Depth=3
	v_bfrev_b32_e32 v17, 1
	s_mov_b32 s24, exec_lo
	v_cmpx_ne_u16_e32 0x80, v30
	s_cbranch_execz .LBB0_294
; %bb.287:                              ;   in Loop: Header=BB0_130 Depth=3
	v_and_b32_e32 v17, 0x7c0000, v4
	v_bfe_u32 v30, v4, 16, 2
	s_delay_alu instid0(VALU_DEP_2) | instskip(SKIP_1) | instid1(SALU_CYCLE_1)
	v_cmp_ne_u32_e64 s9, 0x7c0000, v17
                                        ; implicit-def: $vgpr17
	s_and_saveexec_b32 s25, s9
	s_xor_b32 s25, exec_lo, s25
	s_cbranch_execz .LBB0_291
; %bb.288:                              ;   in Loop: Header=BB0_130 Depth=3
	v_bfe_u32 v17, v4, 18, 5
	s_mov_b32 s26, exec_lo
	s_delay_alu instid0(VALU_DEP_1)
	v_cmpx_eq_u32_e32 0, v17
; %bb.289:                              ;   in Loop: Header=BB0_130 Depth=3
	v_clz_i32_u32_e32 v17, v30
	s_delay_alu instid0(VALU_DEP_1) | instskip(NEXT) | instid1(VALU_DEP_1)
	v_min_u32_e32 v17, 32, v17
	v_subrev_nc_u32_e32 v30, 29, v17
	s_delay_alu instid0(VALU_DEP_1) | instskip(NEXT) | instid1(VALU_DEP_1)
	v_lshlrev_b64_e32 v[44:45], v30, v[2:3]
	v_dual_sub_nc_u32 v17, 30, v17 :: v_dual_bitop2_b32 v30, 3, v44 bitop3:0x40
; %bb.290:                              ;   in Loop: Header=BB0_130 Depth=3
	s_or_b32 exec_lo, exec_lo, s26
	v_lshlrev_b32_e32 v2, 24, v2
                                        ; implicit-def: $vgpr44
	s_delay_alu instid0(VALU_DEP_1) | instskip(NEXT) | instid1(VALU_DEP_1)
	v_and_b32_e32 v2, 0x80000000, v2
	v_lshl_add_u32 v2, v17, 23, v2
	s_delay_alu instid0(VALU_DEP_1) | instskip(NEXT) | instid1(VALU_DEP_1)
	v_lshl_or_b32 v2, v30, 21, v2
                                        ; implicit-def: $vgpr30
	v_add_nc_u32_e32 v17, 0x38000000, v2
.LBB0_291:                              ;   in Loop: Header=BB0_130 Depth=3
	s_and_not1_saveexec_b32 s25, s25
; %bb.292:                              ;   in Loop: Header=BB0_130 Depth=3
	v_bfe_i32 v2, v44, 0, 8
	s_delay_alu instid0(VALU_DEP_1) | instskip(NEXT) | instid1(VALU_DEP_1)
	v_cmp_lt_i16_e64 s9, -1, v2
	v_cndmask_b32_e64 v2, 0xff800000, v21, s9
	v_cmp_eq_u32_e64 s9, 0, v30
	s_delay_alu instid0(VALU_DEP_1)
	v_cndmask_b32_e64 v17, 0x7f800001, v2, s9
; %bb.293:                              ;   in Loop: Header=BB0_130 Depth=3
	s_or_b32 exec_lo, exec_lo, s25
.LBB0_294:                              ;   in Loop: Header=BB0_130 Depth=3
	s_delay_alu instid0(SALU_CYCLE_1)
	s_or_b32 exec_lo, exec_lo, s24
.LBB0_295:                              ;   in Loop: Header=BB0_130 Depth=3
	s_delay_alu instid0(SALU_CYCLE_1) | instskip(NEXT) | instid1(VALU_DEP_1)
	s_or_b32 exec_lo, exec_lo, s23
	v_max_num_f32_e32 v2, v17, v17
	v_max_num_f32_e32 v5, v5, v5
                                        ; implicit-def: $vgpr44
                                        ; implicit-def: $vgpr30
	s_delay_alu instid0(VALU_DEP_1)
	v_max_num_f32_e32 v5, v5, v2
                                        ; implicit-def: $vgpr2
.LBB0_296:                              ;   in Loop: Header=BB0_130 Depth=3
	s_and_not1_saveexec_b32 s9, s22
	s_cbranch_execz .LBB0_318
; %bb.297:                              ;   in Loop: Header=BB0_130 Depth=3
	v_dual_mov_b32 v17, 0 :: v_dual_mov_b32 v5, 0
	s_and_saveexec_b32 s22, vcc_lo
	s_cbranch_execz .LBB0_307
; %bb.298:                              ;   in Loop: Header=BB0_130 Depth=3
	v_bfrev_b32_e32 v5, 1
	s_mov_b32 s23, exec_lo
	v_cmpx_ne_u16_e32 0x80, v44
	s_cbranch_execz .LBB0_306
; %bb.299:                              ;   in Loop: Header=BB0_130 Depth=3
	v_and_b32_e32 v5, 0x7c0000, v16
	v_bfe_u32 v44, v16, 16, 2
	s_delay_alu instid0(VALU_DEP_2) | instskip(SKIP_1) | instid1(SALU_CYCLE_1)
	v_cmp_ne_u32_e32 vcc_lo, 0x7c0000, v5
                                        ; implicit-def: $vgpr5
	s_and_saveexec_b32 s24, vcc_lo
	s_xor_b32 s24, exec_lo, s24
	s_cbranch_execz .LBB0_303
; %bb.300:                              ;   in Loop: Header=BB0_130 Depth=3
	v_bfe_u32 v5, v16, 18, 5
	s_mov_b32 s25, exec_lo
	s_delay_alu instid0(VALU_DEP_1)
	v_cmpx_eq_u32_e32 0, v5
; %bb.301:                              ;   in Loop: Header=BB0_130 Depth=3
	v_clz_i32_u32_e32 v5, v44
	s_delay_alu instid0(VALU_DEP_1) | instskip(NEXT) | instid1(VALU_DEP_1)
	v_min_u32_e32 v5, 32, v5
	v_subrev_nc_u32_e32 v44, 29, v5
	s_delay_alu instid0(VALU_DEP_1) | instskip(NEXT) | instid1(VALU_DEP_1)
	v_lshlrev_b64_e32 v[44:45], v44, v[30:31]
	v_dual_sub_nc_u32 v5, 30, v5 :: v_dual_bitop2_b32 v44, 3, v44 bitop3:0x40
; %bb.302:                              ;   in Loop: Header=BB0_130 Depth=3
	s_or_b32 exec_lo, exec_lo, s25
	v_lshlrev_b32_e32 v30, 24, v30
	s_delay_alu instid0(VALU_DEP_1) | instskip(NEXT) | instid1(VALU_DEP_1)
	v_and_b32_e32 v30, 0x80000000, v30
	v_lshl_add_u32 v5, v5, 23, v30
                                        ; implicit-def: $vgpr30
	s_delay_alu instid0(VALU_DEP_1) | instskip(NEXT) | instid1(VALU_DEP_1)
	v_lshl_or_b32 v5, v44, 21, v5
                                        ; implicit-def: $vgpr44
	v_add_nc_u32_e32 v5, 0x38000000, v5
.LBB0_303:                              ;   in Loop: Header=BB0_130 Depth=3
	s_and_not1_saveexec_b32 s24, s24
; %bb.304:                              ;   in Loop: Header=BB0_130 Depth=3
	v_bfe_i32 v5, v30, 0, 8
	s_delay_alu instid0(VALU_DEP_1) | instskip(SKIP_2) | instid1(VALU_DEP_2)
	v_cmp_lt_i16_e32 vcc_lo, -1, v5
	v_cndmask_b32_e32 v5, 0xff800000, v21, vcc_lo
	v_cmp_eq_u32_e32 vcc_lo, 0, v44
	v_cndmask_b32_e32 v5, 0x7f800001, v5, vcc_lo
; %bb.305:                              ;   in Loop: Header=BB0_130 Depth=3
	s_or_b32 exec_lo, exec_lo, s24
.LBB0_306:                              ;   in Loop: Header=BB0_130 Depth=3
	s_delay_alu instid0(SALU_CYCLE_1)
	s_or_b32 exec_lo, exec_lo, s23
.LBB0_307:                              ;   in Loop: Header=BB0_130 Depth=3
	s_delay_alu instid0(SALU_CYCLE_1) | instskip(SKIP_2) | instid1(VALU_DEP_1)
	s_or_b32 exec_lo, exec_lo, s22
	v_lshrrev_b32_e32 v44, 16, v4
	s_mov_b32 s22, exec_lo
	v_and_b32_e32 v30, 0xff, v44
	s_delay_alu instid0(VALU_DEP_1)
	v_cmpx_ne_u16_e32 0, v30
	s_cbranch_execz .LBB0_317
; %bb.308:                              ;   in Loop: Header=BB0_130 Depth=3
	v_bfrev_b32_e32 v17, 1
	s_mov_b32 s23, exec_lo
	v_cmpx_ne_u16_e32 0x80, v30
	s_cbranch_execz .LBB0_316
; %bb.309:                              ;   in Loop: Header=BB0_130 Depth=3
	v_and_b32_e32 v17, 0x7c0000, v4
	v_bfe_u32 v30, v4, 16, 2
	s_delay_alu instid0(VALU_DEP_2) | instskip(SKIP_1) | instid1(SALU_CYCLE_1)
	v_cmp_ne_u32_e32 vcc_lo, 0x7c0000, v17
                                        ; implicit-def: $vgpr17
	s_and_saveexec_b32 s24, vcc_lo
	s_xor_b32 s24, exec_lo, s24
	s_cbranch_execz .LBB0_313
; %bb.310:                              ;   in Loop: Header=BB0_130 Depth=3
	v_bfe_u32 v17, v4, 18, 5
	s_mov_b32 s25, exec_lo
	s_delay_alu instid0(VALU_DEP_1)
	v_cmpx_eq_u32_e32 0, v17
; %bb.311:                              ;   in Loop: Header=BB0_130 Depth=3
	v_clz_i32_u32_e32 v17, v30
	s_delay_alu instid0(VALU_DEP_1) | instskip(NEXT) | instid1(VALU_DEP_1)
	v_min_u32_e32 v17, 32, v17
	v_subrev_nc_u32_e32 v30, 29, v17
	s_delay_alu instid0(VALU_DEP_1) | instskip(NEXT) | instid1(VALU_DEP_1)
	v_lshlrev_b64_e32 v[44:45], v30, v[2:3]
	v_dual_sub_nc_u32 v17, 30, v17 :: v_dual_bitop2_b32 v30, 3, v44 bitop3:0x40
; %bb.312:                              ;   in Loop: Header=BB0_130 Depth=3
	s_or_b32 exec_lo, exec_lo, s25
	v_lshlrev_b32_e32 v2, 24, v2
                                        ; implicit-def: $vgpr44
	s_delay_alu instid0(VALU_DEP_1) | instskip(NEXT) | instid1(VALU_DEP_1)
	v_and_b32_e32 v2, 0x80000000, v2
	v_lshl_add_u32 v2, v17, 23, v2
	s_delay_alu instid0(VALU_DEP_1) | instskip(NEXT) | instid1(VALU_DEP_1)
	v_lshl_or_b32 v2, v30, 21, v2
                                        ; implicit-def: $vgpr30
	v_add_nc_u32_e32 v17, 0x38000000, v2
.LBB0_313:                              ;   in Loop: Header=BB0_130 Depth=3
	s_and_not1_saveexec_b32 s24, s24
; %bb.314:                              ;   in Loop: Header=BB0_130 Depth=3
	v_bfe_i32 v2, v44, 0, 8
	s_delay_alu instid0(VALU_DEP_1) | instskip(SKIP_2) | instid1(VALU_DEP_2)
	v_cmp_lt_i16_e32 vcc_lo, -1, v2
	v_cndmask_b32_e32 v2, 0xff800000, v21, vcc_lo
	v_cmp_eq_u32_e32 vcc_lo, 0, v30
	v_cndmask_b32_e32 v17, 0x7f800001, v2, vcc_lo
; %bb.315:                              ;   in Loop: Header=BB0_130 Depth=3
	s_or_b32 exec_lo, exec_lo, s24
.LBB0_316:                              ;   in Loop: Header=BB0_130 Depth=3
	s_delay_alu instid0(SALU_CYCLE_1)
	s_or_b32 exec_lo, exec_lo, s23
.LBB0_317:                              ;   in Loop: Header=BB0_130 Depth=3
	s_delay_alu instid0(SALU_CYCLE_1) | instskip(NEXT) | instid1(VALU_DEP_1)
	s_or_b32 exec_lo, exec_lo, s22
	v_max_num_f32_e32 v2, v17, v17
	v_max_num_f32_e32 v5, v5, v5
	s_delay_alu instid0(VALU_DEP_1)
	v_min_num_f32_e32 v5, v5, v2
.LBB0_318:                              ;   in Loop: Header=BB0_130 Depth=3
	s_or_b32 exec_lo, exec_lo, s9
	s_delay_alu instid0(VALU_DEP_1) | instskip(SKIP_3) | instid1(VALU_DEP_3)
	v_and_b32_e32 v46, 0x7f800000, v5
	v_dual_mov_b32 v47, v55 :: v_dual_mov_b32 v45, v55
	v_and_b32_e32 v44, 0x7fffff, v5
	v_lshrrev_b32_e32 v2, 24, v5
	v_cmp_ne_u64_e32 vcc_lo, 0x7f800000, v[46:47]
                                        ; implicit-def: $vgpr46
	s_and_saveexec_b32 s9, vcc_lo
	s_delay_alu instid0(SALU_CYCLE_1)
	s_xor_b32 s22, exec_lo, s9
	s_cbranch_execz .LBB0_332
; %bb.319:                              ;   in Loop: Header=BB0_130 Depth=3
	v_and_b32_e32 v46, 0x7fffffff, v5
	v_mov_b32_e32 v47, v55
	v_and_b32_e32 v2, 0x80, v2
	s_delay_alu instid0(VALU_DEP_2) | instskip(SKIP_1) | instid1(SALU_CYCLE_1)
	v_cmp_gt_u64_e32 vcc_lo, 0x47600001, v[46:47]
                                        ; implicit-def: $vgpr46
	s_and_saveexec_b32 s9, vcc_lo
	s_xor_b32 s23, exec_lo, s9
	s_cbranch_execz .LBB0_329
; %bb.320:                              ;   in Loop: Header=BB0_130 Depth=3
	v_mov_b32_e32 v46, 0
	s_mov_b32 s24, exec_lo
	v_cmpx_ne_u32_e32 0, v5
	s_cbranch_execz .LBB0_328
; %bb.321:                              ;   in Loop: Header=BB0_130 Depth=3
	v_bfe_u32 v5, v5, 23, 8
	v_or_b32_e32 v78, 0x800000, v44
	s_delay_alu instid0(VALU_DEP_2) | instskip(SKIP_1) | instid1(VALU_DEP_2)
	v_sub_nc_u32_e32 v17, 0x71, v5
	v_cmp_gt_u32_e32 vcc_lo, 0x72, v5
	v_cndmask_b32_e32 v17, 0, v17, vcc_lo
	v_cmp_eq_u32_e32 vcc_lo, 0, v5
	s_delay_alu instid0(VALU_DEP_2) | instskip(NEXT) | instid1(VALU_DEP_1)
	v_cndmask_b32_e64 v17, v17, 0x70, vcc_lo
	v_dual_cndmask_b32 v44, v78, v44, vcc_lo :: v_dual_add_nc_u32 v30, 21, v17
	s_delay_alu instid0(VALU_DEP_1) | instskip(SKIP_1) | instid1(VALU_DEP_1)
	v_lshlrev_b64_e64 v[46:47], v30, -1
	v_add_nc_u32_e32 v30, 20, v17
	v_lshlrev_b64_e64 v[78:79], v30, 1
	s_delay_alu instid0(VALU_DEP_3) | instskip(SKIP_2) | instid1(VALU_DEP_1)
	v_bfi_b32 v46, v46, 0, v44
	v_lshrrev_b64 v[44:45], v17, v[44:45]
	v_bfi_b32 v47, v47, 0, 0
	v_cmp_eq_u64_e64 s9, v[46:47], v[78:79]
	s_delay_alu instid0(VALU_DEP_3)
	v_mov_b64_e32 v[46:47], v[44:45]
	s_and_saveexec_b32 s25, s9
; %bb.322:                              ;   in Loop: Header=BB0_130 Depth=3
	v_bfe_u32 v46, v44, 21, 1
	v_mov_b32_e32 v47, v55
	s_delay_alu instid0(VALU_DEP_1) | instskip(NEXT) | instid1(VALU_DEP_1)
	v_add_nc_u64_e32 v[46:47], v[44:45], v[46:47]
	v_add_nc_u64_e32 v[46:47], -1, v[46:47]
; %bb.323:                              ;   in Loop: Header=BB0_130 Depth=3
	s_or_b32 exec_lo, exec_lo, s25
	v_add_nc_u32_e32 v5, 0xffffff81, v5
	v_lshrrev_b32_e32 v30, 23, v44
	s_mov_b32 s9, exec_lo
	v_mov_b32_e32 v45, v55
	s_delay_alu instid0(VALU_DEP_3) | instskip(NEXT) | instid1(VALU_DEP_1)
	v_cndmask_b32_e64 v5, v5, 0xffffff82, vcc_lo
	v_add3_u32 v17, v17, v5, v30
	v_and_b32_e32 v5, 0x1fffff, v46
	s_delay_alu instid0(VALU_DEP_1) | instskip(NEXT) | instid1(VALU_DEP_1)
	v_dual_add_nc_u32 v30, 14, v17 :: v_dual_add_nc_u32 v44, v5, v44
                                        ; implicit-def: $vgpr5
	v_cmpx_ne_u32_e32 0, v30
	s_xor_b32 s9, exec_lo, s9
; %bb.324:                              ;   in Loop: Header=BB0_130 Depth=3
	s_delay_alu instid0(VALU_DEP_2) | instskip(SKIP_2) | instid1(VALU_DEP_2)
	v_cmp_lt_u64_e32 vcc_lo, 0xffffff, v[44:45]
	v_add_nc_u32_e32 v5, 15, v17
	v_cndmask_b32_e64 v17, 0, 1, vcc_lo
	v_cndmask_b32_e32 v5, v30, v5, vcc_lo
	s_delay_alu instid0(VALU_DEP_2)
	v_lshrrev_b64 v[44:45], v17, v[44:45]
; %bb.325:                              ;   in Loop: Header=BB0_130 Depth=3
	s_and_not1_saveexec_b32 s9, s9
; %bb.326:                              ;   in Loop: Header=BB0_130 Depth=3
	s_delay_alu instid0(VALU_DEP_1)
	v_bfe_u32 v5, v44, 23, 1
; %bb.327:                              ;   in Loop: Header=BB0_130 Depth=3
	s_or_b32 exec_lo, exec_lo, s9
	s_delay_alu instid0(VALU_DEP_2) | instskip(NEXT) | instid1(VALU_DEP_2)
	v_lshrrev_b64 v[44:45], 21, v[44:45]
	v_cmp_gt_i32_e32 vcc_lo, 32, v5
	v_min_i32_e32 v17, 31, v5
	v_cmp_eq_u32_e64 s9, 0, v5
	s_delay_alu instid0(VALU_DEP_2) | instskip(SKIP_1) | instid1(VALU_DEP_2)
	v_dual_cndmask_b32 v44, 3, v44 :: v_dual_lshlrev_b32 v17, 2, v17
	v_cndmask_b32_e32 v45, 0, v45, vcc_lo
	v_and_b32_e32 v17, 0xfc, v17
	s_delay_alu instid0(VALU_DEP_2) | instskip(NEXT) | instid1(VALU_DEP_2)
	v_cmp_eq_u64_e32 vcc_lo, 0, v[44:45]
	v_and_or_b32 v5, v44, 3, v17
	s_and_b32 s9, s9, vcc_lo
	s_delay_alu instid0(VALU_DEP_1) | instid1(SALU_CYCLE_1)
	v_cndmask_b32_e64 v5, v5, 0, s9
	s_delay_alu instid0(VALU_DEP_1)
	v_or_b32_e32 v46, v5, v2
.LBB0_328:                              ;   in Loop: Header=BB0_130 Depth=3
	s_or_b32 exec_lo, exec_lo, s24
                                        ; implicit-def: $vgpr2
.LBB0_329:                              ;   in Loop: Header=BB0_130 Depth=3
	s_and_not1_saveexec_b32 s9, s23
; %bb.330:                              ;   in Loop: Header=BB0_130 Depth=3
	v_or_b32_e32 v46, 0x7b, v2
; %bb.331:                              ;   in Loop: Header=BB0_130 Depth=3
	s_or_b32 exec_lo, exec_lo, s9
                                        ; implicit-def: $vgpr5
                                        ; implicit-def: $vgpr44_vgpr45
                                        ; implicit-def: $vgpr2
.LBB0_332:                              ;   in Loop: Header=BB0_130 Depth=3
	s_and_not1_saveexec_b32 s9, s22
	s_cbranch_execz .LBB0_338
; %bb.333:                              ;   in Loop: Header=BB0_130 Depth=3
	s_mov_b32 s22, exec_lo
                                        ; implicit-def: $vgpr46
	v_cmpx_ne_u64_e32 0, v[44:45]
	s_xor_b32 s22, exec_lo, s22
; %bb.334:                              ;   in Loop: Header=BB0_130 Depth=3
	v_or_b32_e32 v46, 0x7f, v2
                                        ; implicit-def: $vgpr5
; %bb.335:                              ;   in Loop: Header=BB0_130 Depth=3
	s_and_not1_saveexec_b32 s22, s22
; %bb.336:                              ;   in Loop: Header=BB0_130 Depth=3
	v_cmp_lt_i32_e32 vcc_lo, -1, v5
	v_cndmask_b32_e32 v46, 0xfc, v58, vcc_lo
; %bb.337:                              ;   in Loop: Header=BB0_130 Depth=3
	s_or_b32 exec_lo, exec_lo, s22
.LBB0_338:                              ;   in Loop: Header=BB0_130 Depth=3
	s_delay_alu instid0(SALU_CYCLE_1) | instskip(SKIP_4) | instid1(SALU_CYCLE_1)
	s_or_b32 exec_lo, exec_lo, s9
	v_lshrrev_b32_e32 v30, 24, v16
	v_lshrrev_b32_e32 v2, 24, v4
	v_cmp_lt_u32_e32 vcc_lo, 0xffffff, v16
                                        ; implicit-def: $vgpr17
	s_and_saveexec_b32 s9, s6
	s_xor_b32 s22, exec_lo, s9
	s_cbranch_execz .LBB0_360
; %bb.339:                              ;   in Loop: Header=BB0_130 Depth=3
	v_dual_mov_b32 v44, 0 :: v_dual_mov_b32 v17, 0
	s_and_saveexec_b32 s23, vcc_lo
	s_cbranch_execz .LBB0_349
; %bb.340:                              ;   in Loop: Header=BB0_130 Depth=3
	v_bfrev_b32_e32 v17, 1
	s_mov_b32 s24, exec_lo
	v_cmpx_ne_u32_e32 0x80, v30
	s_cbranch_execz .LBB0_348
; %bb.341:                              ;   in Loop: Header=BB0_130 Depth=3
	v_and_b32_e32 v17, 0x7c000000, v16
	v_bfe_u32 v5, v16, 24, 2
	s_delay_alu instid0(VALU_DEP_2) | instskip(SKIP_1) | instid1(SALU_CYCLE_1)
	v_cmp_ne_u32_e64 s9, 0x7c000000, v17
                                        ; implicit-def: $vgpr17
	s_and_saveexec_b32 s25, s9
	s_xor_b32 s25, exec_lo, s25
	s_cbranch_execz .LBB0_345
; %bb.342:                              ;   in Loop: Header=BB0_130 Depth=3
	v_bfe_u32 v17, v16, 26, 5
	s_mov_b32 s26, exec_lo
	s_delay_alu instid0(VALU_DEP_1)
	v_cmpx_eq_u32_e32 0, v17
; %bb.343:                              ;   in Loop: Header=BB0_130 Depth=3
	v_clz_i32_u32_e32 v5, v5
	s_delay_alu instid0(VALU_DEP_1) | instskip(NEXT) | instid1(VALU_DEP_1)
	v_min_u32_e32 v5, 32, v5
	v_subrev_nc_u32_e32 v17, 29, v5
	s_delay_alu instid0(VALU_DEP_1) | instskip(NEXT) | instid1(VALU_DEP_1)
	v_lshlrev_b64_e32 v[78:79], v17, v[30:31]
	v_dual_sub_nc_u32 v17, 30, v5 :: v_dual_bitop2_b32 v5, 3, v78 bitop3:0x40
; %bb.344:                              ;   in Loop: Header=BB0_130 Depth=3
	s_or_b32 exec_lo, exec_lo, s26
	v_and_b32_e32 v16, 0x80000000, v16
	s_delay_alu instid0(VALU_DEP_1) | instskip(NEXT) | instid1(VALU_DEP_1)
	v_lshl_add_u32 v16, v17, 23, v16
	v_lshl_or_b32 v5, v5, 21, v16
	s_delay_alu instid0(VALU_DEP_1)
	v_add_nc_u32_e32 v17, 0x38000000, v5
                                        ; implicit-def: $vgpr5
.LBB0_345:                              ;   in Loop: Header=BB0_130 Depth=3
	s_and_not1_saveexec_b32 s25, s25
; %bb.346:                              ;   in Loop: Header=BB0_130 Depth=3
	v_cmp_lt_i32_e64 s9, -1, v16
	s_delay_alu instid0(VALU_DEP_1) | instskip(SKIP_1) | instid1(VALU_DEP_1)
	v_cndmask_b32_e64 v16, 0xff800000, v21, s9
	v_cmp_eq_u32_e64 s9, 0, v5
	v_cndmask_b32_e64 v17, 0x7f800001, v16, s9
; %bb.347:                              ;   in Loop: Header=BB0_130 Depth=3
	s_or_b32 exec_lo, exec_lo, s25
.LBB0_348:                              ;   in Loop: Header=BB0_130 Depth=3
	s_delay_alu instid0(SALU_CYCLE_1)
	s_or_b32 exec_lo, exec_lo, s24
.LBB0_349:                              ;   in Loop: Header=BB0_130 Depth=3
	s_delay_alu instid0(SALU_CYCLE_1) | instskip(NEXT) | instid1(SALU_CYCLE_1)
	s_or_b32 exec_lo, exec_lo, s23
	s_mov_b32 s23, exec_lo
	v_cmpx_lt_u32_e32 0xffffff, v4
	s_cbranch_execz .LBB0_359
; %bb.350:                              ;   in Loop: Header=BB0_130 Depth=3
	v_bfrev_b32_e32 v44, 1
	s_mov_b32 s24, exec_lo
	v_cmpx_ne_u32_e32 0x80, v2
	s_cbranch_execz .LBB0_358
; %bb.351:                              ;   in Loop: Header=BB0_130 Depth=3
	v_and_b32_e32 v5, 0x7c000000, v4
	v_bfe_u32 v16, v4, 24, 2
	s_mov_b32 s25, exec_lo
                                        ; implicit-def: $vgpr44
	s_delay_alu instid0(VALU_DEP_2)
	v_cmpx_ne_u32_e32 0x7c000000, v5
	s_xor_b32 s25, exec_lo, s25
	s_cbranch_execz .LBB0_355
; %bb.352:                              ;   in Loop: Header=BB0_130 Depth=3
	v_bfe_u32 v5, v4, 26, 5
	s_mov_b32 s26, exec_lo
	s_delay_alu instid0(VALU_DEP_1)
	v_cmpx_eq_u32_e32 0, v5
; %bb.353:                              ;   in Loop: Header=BB0_130 Depth=3
	v_clz_i32_u32_e32 v5, v16
	s_delay_alu instid0(VALU_DEP_1) | instskip(NEXT) | instid1(VALU_DEP_1)
	v_min_u32_e32 v5, 32, v5
	v_subrev_nc_u32_e32 v16, 29, v5
	s_delay_alu instid0(VALU_DEP_1) | instskip(NEXT) | instid1(VALU_DEP_1)
	v_lshlrev_b64_e32 v[44:45], v16, v[2:3]
	v_dual_sub_nc_u32 v5, 30, v5 :: v_dual_bitop2_b32 v16, 3, v44 bitop3:0x40
; %bb.354:                              ;   in Loop: Header=BB0_130 Depth=3
	s_or_b32 exec_lo, exec_lo, s26
	v_and_b32_e32 v2, 0x80000000, v4
	s_delay_alu instid0(VALU_DEP_1) | instskip(NEXT) | instid1(VALU_DEP_1)
	v_lshl_add_u32 v2, v5, 23, v2
                                        ; implicit-def: $vgpr4_vgpr5
	v_lshl_or_b32 v2, v16, 21, v2
                                        ; implicit-def: $vgpr16
	s_delay_alu instid0(VALU_DEP_1)
	v_add_nc_u32_e32 v44, 0x38000000, v2
.LBB0_355:                              ;   in Loop: Header=BB0_130 Depth=3
	s_and_not1_saveexec_b32 s25, s25
; %bb.356:                              ;   in Loop: Header=BB0_130 Depth=3
	v_cmp_lt_i32_e64 s9, -1, v4
	s_delay_alu instid0(VALU_DEP_1) | instskip(SKIP_1) | instid1(VALU_DEP_1)
	v_cndmask_b32_e64 v2, 0xff800000, v21, s9
	v_cmp_eq_u32_e64 s9, 0, v16
	v_cndmask_b32_e64 v44, 0x7f800001, v2, s9
; %bb.357:                              ;   in Loop: Header=BB0_130 Depth=3
	s_or_b32 exec_lo, exec_lo, s25
.LBB0_358:                              ;   in Loop: Header=BB0_130 Depth=3
	s_delay_alu instid0(SALU_CYCLE_1)
	s_or_b32 exec_lo, exec_lo, s24
.LBB0_359:                              ;   in Loop: Header=BB0_130 Depth=3
	s_delay_alu instid0(SALU_CYCLE_1) | instskip(NEXT) | instid1(VALU_DEP_1)
	s_or_b32 exec_lo, exec_lo, s23
	v_dual_max_num_f32 v2, v44, v44 :: v_dual_max_num_f32 v4, v17, v17
                                        ; implicit-def: $vgpr30
	s_delay_alu instid0(VALU_DEP_1)
	v_max_num_f32_e32 v17, v4, v2
                                        ; implicit-def: $vgpr4_vgpr5
                                        ; implicit-def: $vgpr2
.LBB0_360:                              ;   in Loop: Header=BB0_130 Depth=3
	s_and_not1_saveexec_b32 s9, s22
	s_cbranch_execz .LBB0_382
; %bb.361:                              ;   in Loop: Header=BB0_130 Depth=3
	v_dual_mov_b32 v44, 0 :: v_dual_mov_b32 v17, 0
	s_and_saveexec_b32 s22, vcc_lo
	s_cbranch_execz .LBB0_371
; %bb.362:                              ;   in Loop: Header=BB0_130 Depth=3
	v_bfrev_b32_e32 v17, 1
	s_mov_b32 s23, exec_lo
	v_cmpx_ne_u32_e32 0x80, v30
	s_cbranch_execz .LBB0_370
; %bb.363:                              ;   in Loop: Header=BB0_130 Depth=3
	v_and_b32_e32 v17, 0x7c000000, v16
	v_bfe_u32 v5, v16, 24, 2
	s_delay_alu instid0(VALU_DEP_2) | instskip(SKIP_1) | instid1(SALU_CYCLE_1)
	v_cmp_ne_u32_e32 vcc_lo, 0x7c000000, v17
                                        ; implicit-def: $vgpr17
	s_and_saveexec_b32 s24, vcc_lo
	s_xor_b32 s24, exec_lo, s24
	s_cbranch_execz .LBB0_367
; %bb.364:                              ;   in Loop: Header=BB0_130 Depth=3
	v_bfe_u32 v17, v16, 26, 5
	s_mov_b32 s25, exec_lo
	s_delay_alu instid0(VALU_DEP_1)
	v_cmpx_eq_u32_e32 0, v17
; %bb.365:                              ;   in Loop: Header=BB0_130 Depth=3
	v_clz_i32_u32_e32 v5, v5
	s_delay_alu instid0(VALU_DEP_1) | instskip(NEXT) | instid1(VALU_DEP_1)
	v_min_u32_e32 v5, 32, v5
	v_subrev_nc_u32_e32 v17, 29, v5
	s_delay_alu instid0(VALU_DEP_1) | instskip(NEXT) | instid1(VALU_DEP_1)
	v_lshlrev_b64_e32 v[78:79], v17, v[30:31]
	v_dual_sub_nc_u32 v17, 30, v5 :: v_dual_bitop2_b32 v5, 3, v78 bitop3:0x40
; %bb.366:                              ;   in Loop: Header=BB0_130 Depth=3
	s_or_b32 exec_lo, exec_lo, s25
	v_and_b32_e32 v16, 0x80000000, v16
	s_delay_alu instid0(VALU_DEP_1) | instskip(NEXT) | instid1(VALU_DEP_1)
	v_lshl_add_u32 v16, v17, 23, v16
	v_lshl_or_b32 v5, v5, 21, v16
	s_delay_alu instid0(VALU_DEP_1)
	v_add_nc_u32_e32 v17, 0x38000000, v5
                                        ; implicit-def: $vgpr5
.LBB0_367:                              ;   in Loop: Header=BB0_130 Depth=3
	s_and_not1_saveexec_b32 s24, s24
; %bb.368:                              ;   in Loop: Header=BB0_130 Depth=3
	v_cmp_lt_i32_e32 vcc_lo, -1, v16
	v_cndmask_b32_e32 v16, 0xff800000, v21, vcc_lo
	v_cmp_eq_u32_e32 vcc_lo, 0, v5
	s_delay_alu instid0(VALU_DEP_2)
	v_cndmask_b32_e32 v17, 0x7f800001, v16, vcc_lo
; %bb.369:                              ;   in Loop: Header=BB0_130 Depth=3
	s_or_b32 exec_lo, exec_lo, s24
.LBB0_370:                              ;   in Loop: Header=BB0_130 Depth=3
	s_delay_alu instid0(SALU_CYCLE_1)
	s_or_b32 exec_lo, exec_lo, s23
.LBB0_371:                              ;   in Loop: Header=BB0_130 Depth=3
	s_delay_alu instid0(SALU_CYCLE_1) | instskip(NEXT) | instid1(SALU_CYCLE_1)
	s_or_b32 exec_lo, exec_lo, s22
	s_mov_b32 s22, exec_lo
	v_cmpx_lt_u32_e32 0xffffff, v4
	s_cbranch_execz .LBB0_381
; %bb.372:                              ;   in Loop: Header=BB0_130 Depth=3
	v_bfrev_b32_e32 v44, 1
	s_mov_b32 s23, exec_lo
	v_cmpx_ne_u32_e32 0x80, v2
	s_cbranch_execz .LBB0_380
; %bb.373:                              ;   in Loop: Header=BB0_130 Depth=3
	v_and_b32_e32 v5, 0x7c000000, v4
	v_bfe_u32 v16, v4, 24, 2
	s_mov_b32 s24, exec_lo
                                        ; implicit-def: $vgpr44
	s_delay_alu instid0(VALU_DEP_2)
	v_cmpx_ne_u32_e32 0x7c000000, v5
	s_xor_b32 s24, exec_lo, s24
	s_cbranch_execz .LBB0_377
; %bb.374:                              ;   in Loop: Header=BB0_130 Depth=3
	v_bfe_u32 v5, v4, 26, 5
	s_mov_b32 s25, exec_lo
	s_delay_alu instid0(VALU_DEP_1)
	v_cmpx_eq_u32_e32 0, v5
; %bb.375:                              ;   in Loop: Header=BB0_130 Depth=3
	v_clz_i32_u32_e32 v5, v16
	s_delay_alu instid0(VALU_DEP_1) | instskip(NEXT) | instid1(VALU_DEP_1)
	v_min_u32_e32 v5, 32, v5
	v_subrev_nc_u32_e32 v16, 29, v5
	s_delay_alu instid0(VALU_DEP_1) | instskip(NEXT) | instid1(VALU_DEP_1)
	v_lshlrev_b64_e32 v[44:45], v16, v[2:3]
	v_dual_sub_nc_u32 v5, 30, v5 :: v_dual_bitop2_b32 v16, 3, v44 bitop3:0x40
; %bb.376:                              ;   in Loop: Header=BB0_130 Depth=3
	s_or_b32 exec_lo, exec_lo, s25
	v_and_b32_e32 v2, 0x80000000, v4
	s_delay_alu instid0(VALU_DEP_1) | instskip(NEXT) | instid1(VALU_DEP_1)
	v_lshl_add_u32 v2, v5, 23, v2
                                        ; implicit-def: $vgpr4_vgpr5
	v_lshl_or_b32 v2, v16, 21, v2
                                        ; implicit-def: $vgpr16
	s_delay_alu instid0(VALU_DEP_1)
	v_add_nc_u32_e32 v44, 0x38000000, v2
.LBB0_377:                              ;   in Loop: Header=BB0_130 Depth=3
	s_and_not1_saveexec_b32 s24, s24
; %bb.378:                              ;   in Loop: Header=BB0_130 Depth=3
	v_cmp_lt_i32_e32 vcc_lo, -1, v4
	v_cndmask_b32_e32 v2, 0xff800000, v21, vcc_lo
	v_cmp_eq_u32_e32 vcc_lo, 0, v16
	s_delay_alu instid0(VALU_DEP_2)
	v_cndmask_b32_e32 v44, 0x7f800001, v2, vcc_lo
; %bb.379:                              ;   in Loop: Header=BB0_130 Depth=3
	s_or_b32 exec_lo, exec_lo, s24
.LBB0_380:                              ;   in Loop: Header=BB0_130 Depth=3
	s_delay_alu instid0(SALU_CYCLE_1)
	s_or_b32 exec_lo, exec_lo, s23
.LBB0_381:                              ;   in Loop: Header=BB0_130 Depth=3
	s_delay_alu instid0(SALU_CYCLE_1) | instskip(NEXT) | instid1(VALU_DEP_1)
	s_or_b32 exec_lo, exec_lo, s22
	v_dual_max_num_f32 v2, v44, v44 :: v_dual_max_num_f32 v4, v17, v17
	s_delay_alu instid0(VALU_DEP_1)
	v_min_num_f32_e32 v17, v4, v2
.LBB0_382:                              ;   in Loop: Header=BB0_130 Depth=3
	s_or_b32 exec_lo, exec_lo, s9
	s_delay_alu instid0(VALU_DEP_1) | instskip(SKIP_4) | instid1(VALU_DEP_3)
	v_and_b32_e32 v44, 0x7f800000, v17
	v_dual_mov_b32 v45, v55 :: v_dual_mov_b32 v5, v55
	v_and_b32_e32 v4, 0x7fffff, v17
	v_lshrrev_b32_e32 v2, 24, v17
                                        ; implicit-def: $vgpr47
	s_mov_b32 s9, exec_lo
	v_cmpx_ne_u64_e32 0x7f800000, v[44:45]
	s_xor_b32 s22, exec_lo, s9
	s_cbranch_execz .LBB0_396
; %bb.383:                              ;   in Loop: Header=BB0_130 Depth=3
	v_and_b32_e32 v44, 0x7fffffff, v17
	v_mov_b32_e32 v45, v55
	v_and_b32_e32 v2, 0x80, v2
                                        ; implicit-def: $vgpr47
	s_mov_b32 s9, exec_lo
	s_delay_alu instid0(VALU_DEP_2)
	v_cmpx_gt_u64_e32 0x47600001, v[44:45]
	s_xor_b32 s23, exec_lo, s9
	s_cbranch_execz .LBB0_393
; %bb.384:                              ;   in Loop: Header=BB0_130 Depth=3
	v_mov_b32_e32 v47, 0
	s_mov_b32 s24, exec_lo
	v_cmpx_ne_u32_e32 0, v17
	s_cbranch_execz .LBB0_392
; %bb.385:                              ;   in Loop: Header=BB0_130 Depth=3
	v_bfe_u32 v30, v17, 23, 8
	v_or_b32_e32 v45, 0x800000, v4
	s_delay_alu instid0(VALU_DEP_2) | instskip(SKIP_1) | instid1(VALU_DEP_2)
	v_sub_nc_u32_e32 v16, 0x71, v30
	v_cmp_gt_u32_e32 vcc_lo, 0x72, v30
	v_cndmask_b32_e32 v16, 0, v16, vcc_lo
	v_cmp_eq_u32_e32 vcc_lo, 0, v30
	s_delay_alu instid0(VALU_DEP_2) | instskip(SKIP_1) | instid1(VALU_DEP_2)
	v_cndmask_b32_e64 v44, v16, 0x70, vcc_lo
	v_cndmask_b32_e32 v4, v45, v4, vcc_lo
	v_dual_add_nc_u32 v16, 21, v44 :: v_dual_add_nc_u32 v47, 20, v44
	s_delay_alu instid0(VALU_DEP_1) | instskip(NEXT) | instid1(VALU_DEP_2)
	v_lshlrev_b64_e64 v[16:17], v16, -1
	v_lshlrev_b64_e64 v[78:79], v47, 1
	s_delay_alu instid0(VALU_DEP_2) | instskip(SKIP_1) | instid1(VALU_DEP_4)
	v_bfi_b32 v16, v16, 0, v4
	v_lshrrev_b64 v[4:5], v44, v[4:5]
	v_bfi_b32 v17, v17, 0, 0
	s_delay_alu instid0(VALU_DEP_1) | instskip(NEXT) | instid1(VALU_DEP_3)
	v_cmp_eq_u64_e64 s9, v[16:17], v[78:79]
	v_mov_b64_e32 v[16:17], v[4:5]
	s_and_saveexec_b32 s25, s9
; %bb.386:                              ;   in Loop: Header=BB0_130 Depth=3
	v_bfe_u32 v16, v4, 21, 1
	v_mov_b32_e32 v17, v55
	s_delay_alu instid0(VALU_DEP_1) | instskip(NEXT) | instid1(VALU_DEP_1)
	v_add_nc_u64_e32 v[16:17], v[4:5], v[16:17]
	v_add_nc_u64_e32 v[16:17], -1, v[16:17]
; %bb.387:                              ;   in Loop: Header=BB0_130 Depth=3
	s_or_b32 exec_lo, exec_lo, s25
	v_add_nc_u32_e32 v5, 0xffffff81, v30
	v_lshrrev_b32_e32 v17, 23, v4
	s_mov_b32 s9, exec_lo
	s_delay_alu instid0(VALU_DEP_2) | instskip(NEXT) | instid1(VALU_DEP_1)
	v_cndmask_b32_e64 v5, v5, 0xffffff82, vcc_lo
	v_add3_u32 v17, v44, v5, v17
	v_and_b32_e32 v5, 0x1fffff, v16
                                        ; implicit-def: $vgpr16
	s_delay_alu instid0(VALU_DEP_1) | instskip(SKIP_1) | instid1(VALU_DEP_2)
	v_dual_add_nc_u32 v30, 14, v17 :: v_dual_add_nc_u32 v4, v5, v4
	v_mov_b32_e32 v5, v55
	v_cmpx_ne_u32_e32 0, v30
	s_xor_b32 s9, exec_lo, s9
; %bb.388:                              ;   in Loop: Header=BB0_130 Depth=3
	s_delay_alu instid0(VALU_DEP_2) | instskip(SKIP_2) | instid1(VALU_DEP_2)
	v_cmp_lt_u64_e32 vcc_lo, 0xffffff, v[4:5]
	v_add_nc_u32_e32 v16, 15, v17
	v_cndmask_b32_e64 v17, 0, 1, vcc_lo
	v_cndmask_b32_e32 v16, v30, v16, vcc_lo
	s_delay_alu instid0(VALU_DEP_2)
	v_lshrrev_b64 v[4:5], v17, v[4:5]
; %bb.389:                              ;   in Loop: Header=BB0_130 Depth=3
	s_and_not1_saveexec_b32 s9, s9
; %bb.390:                              ;   in Loop: Header=BB0_130 Depth=3
	s_delay_alu instid0(VALU_DEP_1)
	v_bfe_u32 v16, v4, 23, 1
; %bb.391:                              ;   in Loop: Header=BB0_130 Depth=3
	s_or_b32 exec_lo, exec_lo, s9
	s_delay_alu instid0(VALU_DEP_2) | instskip(NEXT) | instid1(VALU_DEP_2)
	v_lshrrev_b64 v[4:5], 21, v[4:5]
	v_cmp_gt_i32_e32 vcc_lo, 32, v16
	v_min_i32_e32 v17, 31, v16
	v_cmp_eq_u32_e64 s9, 0, v16
	s_delay_alu instid0(VALU_DEP_4) | instskip(NEXT) | instid1(VALU_DEP_3)
	v_cndmask_b32_e32 v5, 0, v5, vcc_lo
	v_dual_cndmask_b32 v4, 3, v4 :: v_dual_lshlrev_b32 v17, 2, v17
	s_delay_alu instid0(VALU_DEP_1) | instskip(NEXT) | instid1(VALU_DEP_2)
	v_and_b32_e32 v17, 0xfc, v17
	v_cmp_eq_u64_e32 vcc_lo, 0, v[4:5]
	s_delay_alu instid0(VALU_DEP_2)
	v_and_or_b32 v4, v4, 3, v17
	s_and_b32 s9, s9, vcc_lo
	s_delay_alu instid0(VALU_DEP_1) | instid1(SALU_CYCLE_1)
	v_cndmask_b32_e64 v4, v4, 0, s9
	s_delay_alu instid0(VALU_DEP_1)
	v_or_b32_e32 v47, v4, v2
.LBB0_392:                              ;   in Loop: Header=BB0_130 Depth=3
	s_or_b32 exec_lo, exec_lo, s24
                                        ; implicit-def: $vgpr2
.LBB0_393:                              ;   in Loop: Header=BB0_130 Depth=3
	s_and_not1_saveexec_b32 s9, s23
; %bb.394:                              ;   in Loop: Header=BB0_130 Depth=3
	v_or_b32_e32 v47, 0x7b, v2
; %bb.395:                              ;   in Loop: Header=BB0_130 Depth=3
	s_or_b32 exec_lo, exec_lo, s9
                                        ; implicit-def: $vgpr17
                                        ; implicit-def: $vgpr4_vgpr5
                                        ; implicit-def: $vgpr2
.LBB0_396:                              ;   in Loop: Header=BB0_130 Depth=3
	s_and_not1_saveexec_b32 s9, s22
	s_cbranch_execz .LBB0_402
; %bb.397:                              ;   in Loop: Header=BB0_130 Depth=3
	s_mov_b32 s22, exec_lo
                                        ; implicit-def: $vgpr47
	v_cmpx_ne_u64_e32 0, v[4:5]
	s_xor_b32 s22, exec_lo, s22
; %bb.398:                              ;   in Loop: Header=BB0_130 Depth=3
	v_or_b32_e32 v47, 0x7f, v2
                                        ; implicit-def: $vgpr17
; %bb.399:                              ;   in Loop: Header=BB0_130 Depth=3
	s_and_not1_saveexec_b32 s22, s22
; %bb.400:                              ;   in Loop: Header=BB0_130 Depth=3
	v_cmp_lt_i32_e32 vcc_lo, -1, v17
	v_cndmask_b32_e32 v47, 0xfc, v58, vcc_lo
; %bb.401:                              ;   in Loop: Header=BB0_130 Depth=3
	s_or_b32 exec_lo, exec_lo, s22
.LBB0_402:                              ;   in Loop: Header=BB0_130 Depth=3
	s_delay_alu instid0(SALU_CYCLE_1) | instskip(SKIP_4) | instid1(VALU_DEP_4)
	s_or_b32 exec_lo, exec_lo, s9
	v_alignbit_b32 v4, v75, v76, v77
	v_and_b32_e32 v16, 0xff, v18
	v_mov_b32_e32 v5, v55
	v_bfe_i32 v30, v18, 0, 8
                                        ; implicit-def: $vgpr44
	v_bfe_i32 v2, v4, 0, 8
	s_delay_alu instid0(VALU_DEP_4) | instskip(SKIP_1) | instid1(SALU_CYCLE_1)
	v_cmp_ne_u16_e32 vcc_lo, 0, v16
	s_and_saveexec_b32 s9, s6
	s_xor_b32 s22, exec_lo, s9
	s_cbranch_execz .LBB0_424
; %bb.403:                              ;   in Loop: Header=BB0_130 Depth=3
	v_dual_mov_b32 v17, 0 :: v_dual_mov_b32 v16, 0
	s_and_saveexec_b32 s23, vcc_lo
	s_cbranch_execz .LBB0_413
; %bb.404:                              ;   in Loop: Header=BB0_130 Depth=3
	v_bfrev_b32_e32 v16, 1
	s_mov_b32 s24, exec_lo
	v_cmpx_ne_u16_e32 0xff80, v30
	s_cbranch_execz .LBB0_412
; %bb.405:                              ;   in Loop: Header=BB0_130 Depth=3
	v_and_b32_e32 v16, 0x7c, v18
	v_and_b32_e32 v44, 3, v18
	s_delay_alu instid0(VALU_DEP_2) | instskip(SKIP_1) | instid1(SALU_CYCLE_1)
	v_cmp_ne_u32_e64 s9, 0x7c, v16
                                        ; implicit-def: $vgpr16
	s_and_saveexec_b32 s25, s9
	s_xor_b32 s25, exec_lo, s25
	s_cbranch_execz .LBB0_409
; %bb.406:                              ;   in Loop: Header=BB0_130 Depth=3
	v_bfe_u32 v16, v18, 2, 5
	s_mov_b32 s26, exec_lo
	s_delay_alu instid0(VALU_DEP_1)
	v_cmpx_eq_u32_e32 0, v16
; %bb.407:                              ;   in Loop: Header=BB0_130 Depth=3
	v_clz_i32_u32_e32 v16, v44
	s_delay_alu instid0(VALU_DEP_1) | instskip(NEXT) | instid1(VALU_DEP_1)
	v_min_u32_e32 v16, 32, v16
	v_subrev_nc_u32_e32 v30, 29, v16
	v_sub_nc_u32_e32 v16, 30, v16
	s_delay_alu instid0(VALU_DEP_2) | instskip(NEXT) | instid1(VALU_DEP_1)
	v_lshlrev_b64_e32 v[44:45], v30, v[18:19]
	v_and_b32_e32 v44, 3, v44
; %bb.408:                              ;   in Loop: Header=BB0_130 Depth=3
	s_or_b32 exec_lo, exec_lo, s26
	v_lshlrev_b32_e32 v30, 24, v18
	s_delay_alu instid0(VALU_DEP_1) | instskip(NEXT) | instid1(VALU_DEP_1)
	v_and_b32_e32 v30, 0x80000000, v30
	v_lshl_add_u32 v16, v16, 23, v30
                                        ; implicit-def: $vgpr30
	s_delay_alu instid0(VALU_DEP_1) | instskip(NEXT) | instid1(VALU_DEP_1)
	v_lshl_or_b32 v16, v44, 21, v16
                                        ; implicit-def: $vgpr44
	v_add_nc_u32_e32 v16, 0x38000000, v16
.LBB0_409:                              ;   in Loop: Header=BB0_130 Depth=3
	s_and_not1_saveexec_b32 s25, s25
; %bb.410:                              ;   in Loop: Header=BB0_130 Depth=3
	v_cmp_lt_i16_e64 s9, -1, v30
	s_delay_alu instid0(VALU_DEP_1) | instskip(SKIP_1) | instid1(VALU_DEP_1)
	v_cndmask_b32_e64 v16, 0xff800000, v21, s9
	v_cmp_eq_u32_e64 s9, 0, v44
	v_cndmask_b32_e64 v16, 0x7f800001, v16, s9
; %bb.411:                              ;   in Loop: Header=BB0_130 Depth=3
	s_or_b32 exec_lo, exec_lo, s25
.LBB0_412:                              ;   in Loop: Header=BB0_130 Depth=3
	s_delay_alu instid0(SALU_CYCLE_1)
	s_or_b32 exec_lo, exec_lo, s24
.LBB0_413:                              ;   in Loop: Header=BB0_130 Depth=3
	s_delay_alu instid0(SALU_CYCLE_1) | instskip(NEXT) | instid1(SALU_CYCLE_1)
	s_or_b32 exec_lo, exec_lo, s23
	s_mov_b32 s23, exec_lo
	v_cmpx_ne_u16_e32 0, v2
	s_cbranch_execz .LBB0_423
; %bb.414:                              ;   in Loop: Header=BB0_130 Depth=3
	v_bfrev_b32_e32 v17, 1
	s_mov_b32 s24, exec_lo
	v_cmpx_ne_u16_e32 0xff80, v2
	s_cbranch_execz .LBB0_422
; %bb.415:                              ;   in Loop: Header=BB0_130 Depth=3
	v_and_b32_e32 v17, 0x7c, v4
	v_and_b32_e32 v30, 3, v4
	s_delay_alu instid0(VALU_DEP_2) | instskip(SKIP_1) | instid1(SALU_CYCLE_1)
	v_cmp_ne_u32_e64 s9, 0x7c, v17
                                        ; implicit-def: $vgpr17
	s_and_saveexec_b32 s25, s9
	s_xor_b32 s25, exec_lo, s25
	s_cbranch_execz .LBB0_419
; %bb.416:                              ;   in Loop: Header=BB0_130 Depth=3
	v_bfe_u32 v2, v4, 2, 5
	s_mov_b32 s26, exec_lo
	s_delay_alu instid0(VALU_DEP_1)
	v_cmpx_eq_u32_e32 0, v2
; %bb.417:                              ;   in Loop: Header=BB0_130 Depth=3
	v_clz_i32_u32_e32 v2, v30
	s_delay_alu instid0(VALU_DEP_1) | instskip(NEXT) | instid1(VALU_DEP_1)
	v_min_u32_e32 v2, 32, v2
	v_subrev_nc_u32_e32 v17, 29, v2
	s_delay_alu instid0(VALU_DEP_1) | instskip(NEXT) | instid1(VALU_DEP_1)
	v_lshlrev_b64_e32 v[44:45], v17, v[4:5]
	v_dual_sub_nc_u32 v2, 30, v2 :: v_dual_bitop2_b32 v30, 3, v44 bitop3:0x40
; %bb.418:                              ;   in Loop: Header=BB0_130 Depth=3
	s_or_b32 exec_lo, exec_lo, s26
	v_lshlrev_b32_e32 v17, 24, v4
	s_delay_alu instid0(VALU_DEP_1) | instskip(NEXT) | instid1(VALU_DEP_1)
	v_and_b32_e32 v17, 0x80000000, v17
	v_lshl_add_u32 v2, v2, 23, v17
	s_delay_alu instid0(VALU_DEP_1) | instskip(NEXT) | instid1(VALU_DEP_1)
	v_lshl_or_b32 v2, v30, 21, v2
                                        ; implicit-def: $vgpr30
	v_add_nc_u32_e32 v17, 0x38000000, v2
                                        ; implicit-def: $vgpr2
.LBB0_419:                              ;   in Loop: Header=BB0_130 Depth=3
	s_and_not1_saveexec_b32 s25, s25
; %bb.420:                              ;   in Loop: Header=BB0_130 Depth=3
	v_cmp_lt_i16_e64 s9, -1, v2
	s_delay_alu instid0(VALU_DEP_1) | instskip(SKIP_1) | instid1(VALU_DEP_1)
	v_cndmask_b32_e64 v2, 0xff800000, v21, s9
	v_cmp_eq_u32_e64 s9, 0, v30
	v_cndmask_b32_e64 v17, 0x7f800001, v2, s9
; %bb.421:                              ;   in Loop: Header=BB0_130 Depth=3
	s_or_b32 exec_lo, exec_lo, s25
.LBB0_422:                              ;   in Loop: Header=BB0_130 Depth=3
	s_delay_alu instid0(SALU_CYCLE_1)
	s_or_b32 exec_lo, exec_lo, s24
.LBB0_423:                              ;   in Loop: Header=BB0_130 Depth=3
	s_delay_alu instid0(SALU_CYCLE_1) | instskip(NEXT) | instid1(VALU_DEP_1)
	s_or_b32 exec_lo, exec_lo, s23
	v_dual_max_num_f32 v2, v17, v17 :: v_dual_max_num_f32 v16, v16, v16
                                        ; implicit-def: $vgpr30
	s_delay_alu instid0(VALU_DEP_1)
	v_max_num_f32_e32 v44, v16, v2
                                        ; implicit-def: $vgpr2
.LBB0_424:                              ;   in Loop: Header=BB0_130 Depth=3
	s_and_not1_saveexec_b32 s9, s22
	s_cbranch_execz .LBB0_446
; %bb.425:                              ;   in Loop: Header=BB0_130 Depth=3
	v_dual_mov_b32 v17, 0 :: v_dual_mov_b32 v16, 0
	s_and_saveexec_b32 s22, vcc_lo
	s_cbranch_execz .LBB0_435
; %bb.426:                              ;   in Loop: Header=BB0_130 Depth=3
	v_bfrev_b32_e32 v16, 1
	s_mov_b32 s23, exec_lo
	v_cmpx_ne_u16_e32 0xff80, v30
	s_cbranch_execz .LBB0_434
; %bb.427:                              ;   in Loop: Header=BB0_130 Depth=3
	v_and_b32_e32 v16, 0x7c, v18
	v_and_b32_e32 v44, 3, v18
	s_delay_alu instid0(VALU_DEP_2) | instskip(SKIP_1) | instid1(SALU_CYCLE_1)
	v_cmp_ne_u32_e32 vcc_lo, 0x7c, v16
                                        ; implicit-def: $vgpr16
	s_and_saveexec_b32 s24, vcc_lo
	s_xor_b32 s24, exec_lo, s24
	s_cbranch_execz .LBB0_431
; %bb.428:                              ;   in Loop: Header=BB0_130 Depth=3
	v_bfe_u32 v16, v18, 2, 5
	s_mov_b32 s25, exec_lo
	s_delay_alu instid0(VALU_DEP_1)
	v_cmpx_eq_u32_e32 0, v16
; %bb.429:                              ;   in Loop: Header=BB0_130 Depth=3
	v_clz_i32_u32_e32 v16, v44
	s_delay_alu instid0(VALU_DEP_1) | instskip(NEXT) | instid1(VALU_DEP_1)
	v_min_u32_e32 v16, 32, v16
	v_subrev_nc_u32_e32 v30, 29, v16
	v_sub_nc_u32_e32 v16, 30, v16
	s_delay_alu instid0(VALU_DEP_2) | instskip(NEXT) | instid1(VALU_DEP_1)
	v_lshlrev_b64_e32 v[44:45], v30, v[18:19]
	v_and_b32_e32 v44, 3, v44
; %bb.430:                              ;   in Loop: Header=BB0_130 Depth=3
	s_or_b32 exec_lo, exec_lo, s25
	v_lshlrev_b32_e32 v19, 24, v18
                                        ; implicit-def: $vgpr30
	s_delay_alu instid0(VALU_DEP_1) | instskip(NEXT) | instid1(VALU_DEP_1)
	v_and_b32_e32 v19, 0x80000000, v19
	v_lshl_add_u32 v16, v16, 23, v19
	s_delay_alu instid0(VALU_DEP_1) | instskip(NEXT) | instid1(VALU_DEP_1)
	v_lshl_or_b32 v16, v44, 21, v16
                                        ; implicit-def: $vgpr44
	v_add_nc_u32_e32 v16, 0x38000000, v16
.LBB0_431:                              ;   in Loop: Header=BB0_130 Depth=3
	s_and_not1_saveexec_b32 s24, s24
; %bb.432:                              ;   in Loop: Header=BB0_130 Depth=3
	v_cmp_lt_i16_e32 vcc_lo, -1, v30
	v_cndmask_b32_e32 v16, 0xff800000, v21, vcc_lo
	v_cmp_eq_u32_e32 vcc_lo, 0, v44
	s_delay_alu instid0(VALU_DEP_2)
	v_cndmask_b32_e32 v16, 0x7f800001, v16, vcc_lo
; %bb.433:                              ;   in Loop: Header=BB0_130 Depth=3
	s_or_b32 exec_lo, exec_lo, s24
.LBB0_434:                              ;   in Loop: Header=BB0_130 Depth=3
	s_delay_alu instid0(SALU_CYCLE_1)
	s_or_b32 exec_lo, exec_lo, s23
.LBB0_435:                              ;   in Loop: Header=BB0_130 Depth=3
	s_delay_alu instid0(SALU_CYCLE_1) | instskip(NEXT) | instid1(SALU_CYCLE_1)
	s_or_b32 exec_lo, exec_lo, s22
	s_mov_b32 s22, exec_lo
	v_cmpx_ne_u16_e32 0, v2
	s_cbranch_execz .LBB0_445
; %bb.436:                              ;   in Loop: Header=BB0_130 Depth=3
	v_bfrev_b32_e32 v17, 1
	s_mov_b32 s23, exec_lo
	v_cmpx_ne_u16_e32 0xff80, v2
	s_cbranch_execz .LBB0_444
; %bb.437:                              ;   in Loop: Header=BB0_130 Depth=3
	v_and_b32_e32 v17, 0x7c, v4
	v_and_b32_e32 v19, 3, v4
	s_delay_alu instid0(VALU_DEP_2) | instskip(SKIP_1) | instid1(SALU_CYCLE_1)
	v_cmp_ne_u32_e32 vcc_lo, 0x7c, v17
                                        ; implicit-def: $vgpr17
	s_and_saveexec_b32 s24, vcc_lo
	s_xor_b32 s24, exec_lo, s24
	s_cbranch_execz .LBB0_441
; %bb.438:                              ;   in Loop: Header=BB0_130 Depth=3
	v_bfe_u32 v2, v4, 2, 5
	s_mov_b32 s25, exec_lo
	s_delay_alu instid0(VALU_DEP_1)
	v_cmpx_eq_u32_e32 0, v2
; %bb.439:                              ;   in Loop: Header=BB0_130 Depth=3
	v_clz_i32_u32_e32 v2, v19
	s_delay_alu instid0(VALU_DEP_1) | instskip(NEXT) | instid1(VALU_DEP_1)
	v_min_u32_e32 v2, 32, v2
	v_subrev_nc_u32_e32 v17, 29, v2
	s_delay_alu instid0(VALU_DEP_1) | instskip(NEXT) | instid1(VALU_DEP_1)
	v_lshlrev_b64_e32 v[44:45], v17, v[4:5]
	v_dual_sub_nc_u32 v2, 30, v2 :: v_dual_bitop2_b32 v19, 3, v44 bitop3:0x40
; %bb.440:                              ;   in Loop: Header=BB0_130 Depth=3
	s_or_b32 exec_lo, exec_lo, s25
	v_lshlrev_b32_e32 v5, 24, v4
	s_delay_alu instid0(VALU_DEP_1) | instskip(NEXT) | instid1(VALU_DEP_1)
	v_and_b32_e32 v5, 0x80000000, v5
	v_lshl_add_u32 v2, v2, 23, v5
	s_delay_alu instid0(VALU_DEP_1) | instskip(NEXT) | instid1(VALU_DEP_1)
	v_lshl_or_b32 v2, v19, 21, v2
                                        ; implicit-def: $vgpr19
	v_add_nc_u32_e32 v17, 0x38000000, v2
                                        ; implicit-def: $vgpr2
.LBB0_441:                              ;   in Loop: Header=BB0_130 Depth=3
	s_and_not1_saveexec_b32 s24, s24
; %bb.442:                              ;   in Loop: Header=BB0_130 Depth=3
	v_cmp_lt_i16_e32 vcc_lo, -1, v2
	v_cndmask_b32_e32 v2, 0xff800000, v21, vcc_lo
	v_cmp_eq_u32_e32 vcc_lo, 0, v19
	s_delay_alu instid0(VALU_DEP_2)
	v_cndmask_b32_e32 v17, 0x7f800001, v2, vcc_lo
; %bb.443:                              ;   in Loop: Header=BB0_130 Depth=3
	s_or_b32 exec_lo, exec_lo, s24
.LBB0_444:                              ;   in Loop: Header=BB0_130 Depth=3
	s_delay_alu instid0(SALU_CYCLE_1)
	s_or_b32 exec_lo, exec_lo, s23
.LBB0_445:                              ;   in Loop: Header=BB0_130 Depth=3
	s_delay_alu instid0(SALU_CYCLE_1) | instskip(NEXT) | instid1(VALU_DEP_1)
	s_or_b32 exec_lo, exec_lo, s22
	v_dual_max_num_f32 v2, v17, v17 :: v_dual_max_num_f32 v5, v16, v16
	s_delay_alu instid0(VALU_DEP_1)
	v_min_num_f32_e32 v44, v5, v2
.LBB0_446:                              ;   in Loop: Header=BB0_130 Depth=3
	s_or_b32 exec_lo, exec_lo, s9
	s_delay_alu instid0(VALU_DEP_1) | instskip(SKIP_4) | instid1(VALU_DEP_3)
	v_and_b32_e32 v76, 0x7f800000, v44
	v_dual_mov_b32 v77, v55 :: v_dual_mov_b32 v17, v55
	v_and_b32_e32 v16, 0x7fffff, v44
	v_lshrrev_b32_e32 v2, 24, v44
                                        ; implicit-def: $vgpr75
	s_mov_b32 s9, exec_lo
	v_cmpx_ne_u64_e32 0x7f800000, v[76:77]
	s_xor_b32 s22, exec_lo, s9
	s_cbranch_execz .LBB0_460
; %bb.447:                              ;   in Loop: Header=BB0_130 Depth=3
	v_and_b32_e32 v76, 0x7fffffff, v44
	v_mov_b32_e32 v77, v55
	v_and_b32_e32 v2, 0x80, v2
                                        ; implicit-def: $vgpr75
	s_mov_b32 s9, exec_lo
	s_delay_alu instid0(VALU_DEP_2)
	v_cmpx_gt_u64_e32 0x47600001, v[76:77]
	s_xor_b32 s23, exec_lo, s9
	s_cbranch_execz .LBB0_457
; %bb.448:                              ;   in Loop: Header=BB0_130 Depth=3
	v_mov_b32_e32 v75, 0
	s_mov_b32 s24, exec_lo
	v_cmpx_ne_u32_e32 0, v44
	s_cbranch_execz .LBB0_456
; %bb.449:                              ;   in Loop: Header=BB0_130 Depth=3
	v_bfe_u32 v5, v44, 23, 8
	v_or_b32_e32 v75, 0x800000, v16
	s_delay_alu instid0(VALU_DEP_2) | instskip(SKIP_1) | instid1(VALU_DEP_2)
	v_sub_nc_u32_e32 v19, 0x71, v5
	v_cmp_gt_u32_e32 vcc_lo, 0x72, v5
	v_cndmask_b32_e32 v19, 0, v19, vcc_lo
	v_cmp_eq_u32_e32 vcc_lo, 0, v5
	s_delay_alu instid0(VALU_DEP_2) | instskip(NEXT) | instid1(VALU_DEP_1)
	v_cndmask_b32_e64 v19, v19, 0x70, vcc_lo
	v_dual_cndmask_b32 v16, v75, v16, vcc_lo :: v_dual_add_nc_u32 v30, 21, v19
	s_delay_alu instid0(VALU_DEP_1) | instskip(SKIP_1) | instid1(VALU_DEP_1)
	v_lshlrev_b64_e64 v[44:45], v30, -1
	v_add_nc_u32_e32 v30, 20, v19
	v_lshlrev_b64_e64 v[76:77], v30, 1
	s_delay_alu instid0(VALU_DEP_3) | instskip(SKIP_2) | instid1(VALU_DEP_1)
	v_bfi_b32 v44, v44, 0, v16
	v_lshrrev_b64 v[16:17], v19, v[16:17]
	v_bfi_b32 v45, v45, 0, 0
	v_cmp_eq_u64_e64 s9, v[44:45], v[76:77]
	s_delay_alu instid0(VALU_DEP_3)
	v_mov_b64_e32 v[44:45], v[16:17]
	s_and_saveexec_b32 s25, s9
; %bb.450:                              ;   in Loop: Header=BB0_130 Depth=3
	v_bfe_u32 v44, v16, 21, 1
	v_mov_b32_e32 v45, v55
	s_delay_alu instid0(VALU_DEP_1) | instskip(NEXT) | instid1(VALU_DEP_1)
	v_add_nc_u64_e32 v[44:45], v[16:17], v[44:45]
	v_add_nc_u64_e32 v[44:45], -1, v[44:45]
; %bb.451:                              ;   in Loop: Header=BB0_130 Depth=3
	s_or_b32 exec_lo, exec_lo, s25
	v_add_nc_u32_e32 v5, 0xffffff81, v5
	v_lshrrev_b32_e32 v17, 23, v16
	s_mov_b32 s9, exec_lo
	s_delay_alu instid0(VALU_DEP_2) | instskip(NEXT) | instid1(VALU_DEP_1)
	v_cndmask_b32_e64 v5, v5, 0xffffff82, vcc_lo
	v_add3_u32 v19, v19, v5, v17
	v_and_b32_e32 v5, 0x1fffff, v44
	s_delay_alu instid0(VALU_DEP_2) | instskip(NEXT) | instid1(VALU_DEP_2)
	v_dual_mov_b32 v17, v55 :: v_dual_add_nc_u32 v30, 14, v19
	v_add_nc_u32_e32 v16, v5, v16
                                        ; implicit-def: $vgpr5
	s_delay_alu instid0(VALU_DEP_2)
	v_cmpx_ne_u32_e32 0, v30
	s_xor_b32 s9, exec_lo, s9
; %bb.452:                              ;   in Loop: Header=BB0_130 Depth=3
	s_delay_alu instid0(VALU_DEP_2) | instskip(SKIP_2) | instid1(VALU_DEP_2)
	v_cmp_lt_u64_e32 vcc_lo, 0xffffff, v[16:17]
	v_add_nc_u32_e32 v5, 15, v19
	v_cndmask_b32_e64 v19, 0, 1, vcc_lo
	v_cndmask_b32_e32 v5, v30, v5, vcc_lo
	s_delay_alu instid0(VALU_DEP_2)
	v_lshrrev_b64 v[16:17], v19, v[16:17]
; %bb.453:                              ;   in Loop: Header=BB0_130 Depth=3
	s_and_not1_saveexec_b32 s9, s9
; %bb.454:                              ;   in Loop: Header=BB0_130 Depth=3
	s_delay_alu instid0(VALU_DEP_1)
	v_bfe_u32 v5, v16, 23, 1
; %bb.455:                              ;   in Loop: Header=BB0_130 Depth=3
	s_or_b32 exec_lo, exec_lo, s9
	s_delay_alu instid0(VALU_DEP_2) | instskip(NEXT) | instid1(VALU_DEP_2)
	v_lshrrev_b64 v[16:17], 21, v[16:17]
	v_cmp_gt_i32_e32 vcc_lo, 32, v5
	v_min_i32_e32 v19, 31, v5
	v_cmp_eq_u32_e64 s9, 0, v5
	s_delay_alu instid0(VALU_DEP_2) | instskip(SKIP_1) | instid1(VALU_DEP_2)
	v_dual_cndmask_b32 v16, 3, v16 :: v_dual_lshlrev_b32 v19, 2, v19
	v_cndmask_b32_e32 v17, 0, v17, vcc_lo
	v_and_b32_e32 v19, 0xfc, v19
	s_delay_alu instid0(VALU_DEP_2) | instskip(NEXT) | instid1(VALU_DEP_2)
	v_cmp_eq_u64_e32 vcc_lo, 0, v[16:17]
	v_and_or_b32 v5, v16, 3, v19
	s_and_b32 s9, s9, vcc_lo
	s_delay_alu instid0(VALU_DEP_1) | instid1(SALU_CYCLE_1)
	v_cndmask_b32_e64 v5, v5, 0, s9
	s_delay_alu instid0(VALU_DEP_1)
	v_or_b32_e32 v75, v5, v2
.LBB0_456:                              ;   in Loop: Header=BB0_130 Depth=3
	s_or_b32 exec_lo, exec_lo, s24
                                        ; implicit-def: $vgpr2
.LBB0_457:                              ;   in Loop: Header=BB0_130 Depth=3
	s_and_not1_saveexec_b32 s9, s23
; %bb.458:                              ;   in Loop: Header=BB0_130 Depth=3
	v_or_b32_e32 v75, 0x7b, v2
; %bb.459:                              ;   in Loop: Header=BB0_130 Depth=3
	s_or_b32 exec_lo, exec_lo, s9
                                        ; implicit-def: $vgpr44
                                        ; implicit-def: $vgpr16_vgpr17
                                        ; implicit-def: $vgpr2
.LBB0_460:                              ;   in Loop: Header=BB0_130 Depth=3
	s_and_not1_saveexec_b32 s9, s22
	s_cbranch_execz .LBB0_466
; %bb.461:                              ;   in Loop: Header=BB0_130 Depth=3
	s_mov_b32 s22, exec_lo
                                        ; implicit-def: $vgpr75
	v_cmpx_ne_u64_e32 0, v[16:17]
	s_xor_b32 s22, exec_lo, s22
; %bb.462:                              ;   in Loop: Header=BB0_130 Depth=3
	v_or_b32_e32 v75, 0x7f, v2
                                        ; implicit-def: $vgpr44
; %bb.463:                              ;   in Loop: Header=BB0_130 Depth=3
	s_and_not1_saveexec_b32 s22, s22
; %bb.464:                              ;   in Loop: Header=BB0_130 Depth=3
	v_cmp_lt_i32_e32 vcc_lo, -1, v44
	v_cndmask_b32_e32 v75, 0xfc, v58, vcc_lo
; %bb.465:                              ;   in Loop: Header=BB0_130 Depth=3
	s_or_b32 exec_lo, exec_lo, s22
.LBB0_466:                              ;   in Loop: Header=BB0_130 Depth=3
	s_delay_alu instid0(SALU_CYCLE_1) | instskip(SKIP_2) | instid1(VALU_DEP_2)
	s_or_b32 exec_lo, exec_lo, s9
	v_lshrrev_b16 v44, 8, v18
	v_lshrrev_b16 v16, 8, v4
                                        ; implicit-def: $vgpr5
	v_and_b32_e32 v17, 0xffff, v44
	v_cmp_ne_u16_e32 vcc_lo, 0, v44
	s_and_saveexec_b32 s9, s6
	s_delay_alu instid0(SALU_CYCLE_1)
	s_xor_b32 s22, exec_lo, s9
	s_cbranch_execz .LBB0_488
; %bb.467:                              ;   in Loop: Header=BB0_130 Depth=3
	v_dual_mov_b32 v5, 0 :: v_dual_mov_b32 v2, 0
	s_and_saveexec_b32 s23, vcc_lo
	s_cbranch_execz .LBB0_477
; %bb.468:                              ;   in Loop: Header=BB0_130 Depth=3
	v_bfrev_b32_e32 v2, 1
	s_mov_b32 s24, exec_lo
	v_cmpx_ne_u16_e32 0x80, v44
	s_cbranch_execz .LBB0_476
; %bb.469:                              ;   in Loop: Header=BB0_130 Depth=3
	v_and_b32_e32 v2, 0x7c, v17
	v_and_b32_e32 v19, 3, v17
	s_delay_alu instid0(VALU_DEP_2) | instskip(SKIP_1) | instid1(SALU_CYCLE_1)
	v_cmp_ne_u32_e64 s9, 0x7c, v2
                                        ; implicit-def: $vgpr2
	s_and_saveexec_b32 s25, s9
	s_xor_b32 s25, exec_lo, s25
	s_cbranch_execz .LBB0_473
; %bb.470:                              ;   in Loop: Header=BB0_130 Depth=3
	v_bfe_u32 v2, v17, 2, 5
	s_mov_b32 s26, exec_lo
	s_delay_alu instid0(VALU_DEP_1)
	v_cmpx_eq_u32_e32 0, v2
	s_cbranch_execz .LBB0_472
; %bb.471:                              ;   in Loop: Header=BB0_130 Depth=3
	v_clz_i32_u32_e32 v2, v19
	s_delay_alu instid0(VALU_DEP_1) | instskip(SKIP_1) | instid1(VALU_DEP_2)
	v_min_u32_e32 v2, 32, v2
	v_mov_b32_e32 v45, v55
	v_subrev_nc_u32_e32 v17, 29, v2
	v_sub_nc_u32_e32 v2, 30, v2
	s_delay_alu instid0(VALU_DEP_2) | instskip(NEXT) | instid1(VALU_DEP_1)
	v_lshlrev_b64_e32 v[44:45], v17, v[44:45]
	v_and_b32_e32 v19, 3, v44
.LBB0_472:                              ;   in Loop: Header=BB0_130 Depth=3
	s_or_b32 exec_lo, exec_lo, s26
	v_lshlrev_b32_e32 v17, 16, v18
	s_delay_alu instid0(VALU_DEP_1) | instskip(NEXT) | instid1(VALU_DEP_1)
	v_and_b32_e32 v17, 0x80000000, v17
	v_lshl_add_u32 v2, v2, 23, v17
	s_delay_alu instid0(VALU_DEP_1) | instskip(NEXT) | instid1(VALU_DEP_1)
	v_lshl_or_b32 v2, v19, 21, v2
                                        ; implicit-def: $vgpr19
	v_add_nc_u32_e32 v2, 0x38000000, v2
.LBB0_473:                              ;   in Loop: Header=BB0_130 Depth=3
	s_and_not1_saveexec_b32 s25, s25
; %bb.474:                              ;   in Loop: Header=BB0_130 Depth=3
	v_cmp_lt_i16_e64 s9, -1, v18
	s_delay_alu instid0(VALU_DEP_1) | instskip(SKIP_1) | instid1(VALU_DEP_1)
	v_cndmask_b32_e64 v2, 0xff800000, v21, s9
	v_cmp_eq_u32_e64 s9, 0, v19
	v_cndmask_b32_e64 v2, 0x7f800001, v2, s9
; %bb.475:                              ;   in Loop: Header=BB0_130 Depth=3
	s_or_b32 exec_lo, exec_lo, s25
.LBB0_476:                              ;   in Loop: Header=BB0_130 Depth=3
	s_delay_alu instid0(SALU_CYCLE_1)
	s_or_b32 exec_lo, exec_lo, s24
.LBB0_477:                              ;   in Loop: Header=BB0_130 Depth=3
	s_delay_alu instid0(SALU_CYCLE_1) | instskip(NEXT) | instid1(SALU_CYCLE_1)
	s_or_b32 exec_lo, exec_lo, s23
	s_mov_b32 s23, exec_lo
	v_cmpx_ne_u16_e32 0, v16
	s_cbranch_execz .LBB0_487
; %bb.478:                              ;   in Loop: Header=BB0_130 Depth=3
	v_bfrev_b32_e32 v5, 1
	s_mov_b32 s24, exec_lo
	v_cmpx_ne_u16_e32 0x80, v16
	s_cbranch_execz .LBB0_486
; %bb.479:                              ;   in Loop: Header=BB0_130 Depth=3
	v_and_b32_e32 v19, 0xffff, v16
	s_delay_alu instid0(VALU_DEP_1) | instskip(SKIP_1) | instid1(VALU_DEP_2)
	v_and_b32_e32 v5, 0x7c, v19
	v_and_b32_e32 v17, 3, v19
	v_cmp_ne_u32_e64 s9, 0x7c, v5
                                        ; implicit-def: $vgpr5
	s_and_saveexec_b32 s25, s9
	s_delay_alu instid0(SALU_CYCLE_1)
	s_xor_b32 s25, exec_lo, s25
	s_cbranch_execz .LBB0_483
; %bb.480:                              ;   in Loop: Header=BB0_130 Depth=3
	v_bfe_u32 v5, v19, 2, 5
	s_mov_b32 s26, exec_lo
	s_delay_alu instid0(VALU_DEP_1)
	v_cmpx_eq_u32_e32 0, v5
	s_cbranch_execz .LBB0_482
; %bb.481:                              ;   in Loop: Header=BB0_130 Depth=3
	v_clz_i32_u32_e32 v5, v17
	s_delay_alu instid0(VALU_DEP_1) | instskip(SKIP_1) | instid1(VALU_DEP_2)
	v_min_u32_e32 v5, 32, v5
	v_mov_b32_e32 v17, v55
	v_subrev_nc_u32_e32 v19, 29, v5
	v_sub_nc_u32_e32 v5, 30, v5
	s_delay_alu instid0(VALU_DEP_2) | instskip(NEXT) | instid1(VALU_DEP_1)
	v_lshlrev_b64_e32 v[16:17], v19, v[16:17]
	v_and_b32_e32 v17, 3, v16
.LBB0_482:                              ;   in Loop: Header=BB0_130 Depth=3
	s_or_b32 exec_lo, exec_lo, s26
	v_lshlrev_b32_e32 v16, 16, v4
	s_delay_alu instid0(VALU_DEP_1) | instskip(NEXT) | instid1(VALU_DEP_1)
	v_and_b32_e32 v16, 0x80000000, v16
	v_lshl_add_u32 v5, v5, 23, v16
	s_delay_alu instid0(VALU_DEP_1) | instskip(NEXT) | instid1(VALU_DEP_1)
	v_lshl_or_b32 v5, v17, 21, v5
                                        ; implicit-def: $vgpr17
	v_add_nc_u32_e32 v5, 0x38000000, v5
.LBB0_483:                              ;   in Loop: Header=BB0_130 Depth=3
	s_and_not1_saveexec_b32 s25, s25
; %bb.484:                              ;   in Loop: Header=BB0_130 Depth=3
	v_cmp_lt_i16_e64 s9, -1, v4
	s_delay_alu instid0(VALU_DEP_1) | instskip(SKIP_1) | instid1(VALU_DEP_1)
	v_cndmask_b32_e64 v5, 0xff800000, v21, s9
	v_cmp_eq_u32_e64 s9, 0, v17
	v_cndmask_b32_e64 v5, 0x7f800001, v5, s9
; %bb.485:                              ;   in Loop: Header=BB0_130 Depth=3
	s_or_b32 exec_lo, exec_lo, s25
.LBB0_486:                              ;   in Loop: Header=BB0_130 Depth=3
	s_delay_alu instid0(SALU_CYCLE_1)
	s_or_b32 exec_lo, exec_lo, s24
.LBB0_487:                              ;   in Loop: Header=BB0_130 Depth=3
	s_delay_alu instid0(SALU_CYCLE_1) | instskip(NEXT) | instid1(VALU_DEP_1)
	s_or_b32 exec_lo, exec_lo, s23
	v_dual_max_num_f32 v5, v5, v5 :: v_dual_max_num_f32 v2, v2, v2
                                        ; implicit-def: $vgpr16
                                        ; implicit-def: $vgpr44
                                        ; implicit-def: $vgpr17
	s_delay_alu instid0(VALU_DEP_1)
	v_max_num_f32_e32 v5, v2, v5
.LBB0_488:                              ;   in Loop: Header=BB0_130 Depth=3
	s_and_not1_saveexec_b32 s9, s22
	s_cbranch_execz .LBB0_510
; %bb.489:                              ;   in Loop: Header=BB0_130 Depth=3
	v_dual_mov_b32 v5, 0 :: v_dual_mov_b32 v2, 0
	s_and_saveexec_b32 s22, vcc_lo
	s_cbranch_execz .LBB0_499
; %bb.490:                              ;   in Loop: Header=BB0_130 Depth=3
	v_bfrev_b32_e32 v2, 1
	s_mov_b32 s23, exec_lo
	v_cmpx_ne_u16_e32 0x80, v44
	s_cbranch_execz .LBB0_498
; %bb.491:                              ;   in Loop: Header=BB0_130 Depth=3
	v_and_b32_e32 v2, 0x7c, v17
	v_and_b32_e32 v19, 3, v17
	s_delay_alu instid0(VALU_DEP_2) | instskip(SKIP_1) | instid1(SALU_CYCLE_1)
	v_cmp_ne_u32_e32 vcc_lo, 0x7c, v2
                                        ; implicit-def: $vgpr2
	s_and_saveexec_b32 s24, vcc_lo
	s_xor_b32 s24, exec_lo, s24
	s_cbranch_execz .LBB0_495
; %bb.492:                              ;   in Loop: Header=BB0_130 Depth=3
	v_bfe_u32 v2, v17, 2, 5
	s_mov_b32 s25, exec_lo
	s_delay_alu instid0(VALU_DEP_1)
	v_cmpx_eq_u32_e32 0, v2
	s_cbranch_execz .LBB0_494
; %bb.493:                              ;   in Loop: Header=BB0_130 Depth=3
	v_clz_i32_u32_e32 v2, v19
	s_delay_alu instid0(VALU_DEP_1) | instskip(SKIP_1) | instid1(VALU_DEP_2)
	v_min_u32_e32 v2, 32, v2
	v_mov_b32_e32 v45, v55
	v_subrev_nc_u32_e32 v17, 29, v2
	v_sub_nc_u32_e32 v2, 30, v2
	s_delay_alu instid0(VALU_DEP_2) | instskip(NEXT) | instid1(VALU_DEP_1)
	v_lshlrev_b64_e32 v[44:45], v17, v[44:45]
	v_and_b32_e32 v19, 3, v44
.LBB0_494:                              ;   in Loop: Header=BB0_130 Depth=3
	s_or_b32 exec_lo, exec_lo, s25
	v_lshlrev_b32_e32 v17, 16, v18
	s_delay_alu instid0(VALU_DEP_1) | instskip(NEXT) | instid1(VALU_DEP_1)
	v_and_b32_e32 v17, 0x80000000, v17
	v_lshl_add_u32 v2, v2, 23, v17
	s_delay_alu instid0(VALU_DEP_1) | instskip(NEXT) | instid1(VALU_DEP_1)
	v_lshl_or_b32 v2, v19, 21, v2
                                        ; implicit-def: $vgpr19
	v_add_nc_u32_e32 v2, 0x38000000, v2
.LBB0_495:                              ;   in Loop: Header=BB0_130 Depth=3
	s_and_not1_saveexec_b32 s24, s24
; %bb.496:                              ;   in Loop: Header=BB0_130 Depth=3
	v_cmp_lt_i16_e32 vcc_lo, -1, v18
	v_cndmask_b32_e32 v2, 0xff800000, v21, vcc_lo
	v_cmp_eq_u32_e32 vcc_lo, 0, v19
	s_delay_alu instid0(VALU_DEP_2)
	v_cndmask_b32_e32 v2, 0x7f800001, v2, vcc_lo
; %bb.497:                              ;   in Loop: Header=BB0_130 Depth=3
	s_or_b32 exec_lo, exec_lo, s24
.LBB0_498:                              ;   in Loop: Header=BB0_130 Depth=3
	s_delay_alu instid0(SALU_CYCLE_1)
	s_or_b32 exec_lo, exec_lo, s23
.LBB0_499:                              ;   in Loop: Header=BB0_130 Depth=3
	s_delay_alu instid0(SALU_CYCLE_1) | instskip(NEXT) | instid1(SALU_CYCLE_1)
	s_or_b32 exec_lo, exec_lo, s22
	s_mov_b32 s22, exec_lo
	v_cmpx_ne_u16_e32 0, v16
	s_cbranch_execz .LBB0_509
; %bb.500:                              ;   in Loop: Header=BB0_130 Depth=3
	v_bfrev_b32_e32 v5, 1
	s_mov_b32 s23, exec_lo
	v_cmpx_ne_u16_e32 0x80, v16
	s_cbranch_execz .LBB0_508
; %bb.501:                              ;   in Loop: Header=BB0_130 Depth=3
	v_and_b32_e32 v19, 0xffff, v16
	s_delay_alu instid0(VALU_DEP_1) | instskip(SKIP_1) | instid1(VALU_DEP_2)
	v_and_b32_e32 v5, 0x7c, v19
	v_and_b32_e32 v17, 3, v19
	v_cmp_ne_u32_e32 vcc_lo, 0x7c, v5
                                        ; implicit-def: $vgpr5
	s_and_saveexec_b32 s24, vcc_lo
	s_delay_alu instid0(SALU_CYCLE_1)
	s_xor_b32 s24, exec_lo, s24
	s_cbranch_execz .LBB0_505
; %bb.502:                              ;   in Loop: Header=BB0_130 Depth=3
	v_bfe_u32 v5, v19, 2, 5
	s_mov_b32 s25, exec_lo
	s_delay_alu instid0(VALU_DEP_1)
	v_cmpx_eq_u32_e32 0, v5
	s_cbranch_execz .LBB0_504
; %bb.503:                              ;   in Loop: Header=BB0_130 Depth=3
	v_clz_i32_u32_e32 v5, v17
	s_delay_alu instid0(VALU_DEP_1) | instskip(SKIP_1) | instid1(VALU_DEP_2)
	v_min_u32_e32 v5, 32, v5
	v_mov_b32_e32 v17, v55
	v_subrev_nc_u32_e32 v19, 29, v5
	v_sub_nc_u32_e32 v5, 30, v5
	s_delay_alu instid0(VALU_DEP_2) | instskip(NEXT) | instid1(VALU_DEP_1)
	v_lshlrev_b64_e32 v[16:17], v19, v[16:17]
	v_and_b32_e32 v17, 3, v16
.LBB0_504:                              ;   in Loop: Header=BB0_130 Depth=3
	s_or_b32 exec_lo, exec_lo, s25
	v_lshlrev_b32_e32 v16, 16, v4
	s_delay_alu instid0(VALU_DEP_1) | instskip(NEXT) | instid1(VALU_DEP_1)
	v_and_b32_e32 v16, 0x80000000, v16
	v_lshl_add_u32 v5, v5, 23, v16
	s_delay_alu instid0(VALU_DEP_1) | instskip(NEXT) | instid1(VALU_DEP_1)
	v_lshl_or_b32 v5, v17, 21, v5
                                        ; implicit-def: $vgpr17
	v_add_nc_u32_e32 v5, 0x38000000, v5
.LBB0_505:                              ;   in Loop: Header=BB0_130 Depth=3
	s_and_not1_saveexec_b32 s24, s24
; %bb.506:                              ;   in Loop: Header=BB0_130 Depth=3
	v_cmp_lt_i16_e32 vcc_lo, -1, v4
	v_cndmask_b32_e32 v5, 0xff800000, v21, vcc_lo
	v_cmp_eq_u32_e32 vcc_lo, 0, v17
	s_delay_alu instid0(VALU_DEP_2)
	v_cndmask_b32_e32 v5, 0x7f800001, v5, vcc_lo
; %bb.507:                              ;   in Loop: Header=BB0_130 Depth=3
	s_or_b32 exec_lo, exec_lo, s24
.LBB0_508:                              ;   in Loop: Header=BB0_130 Depth=3
	s_delay_alu instid0(SALU_CYCLE_1)
	s_or_b32 exec_lo, exec_lo, s23
.LBB0_509:                              ;   in Loop: Header=BB0_130 Depth=3
	s_delay_alu instid0(SALU_CYCLE_1) | instskip(NEXT) | instid1(VALU_DEP_1)
	s_or_b32 exec_lo, exec_lo, s22
	v_dual_max_num_f32 v5, v5, v5 :: v_dual_max_num_f32 v2, v2, v2
	s_delay_alu instid0(VALU_DEP_1)
	v_min_num_f32_e32 v5, v2, v5
.LBB0_510:                              ;   in Loop: Header=BB0_130 Depth=3
	s_or_b32 exec_lo, exec_lo, s9
	s_delay_alu instid0(VALU_DEP_1) | instskip(SKIP_4) | instid1(VALU_DEP_3)
	v_and_b32_e32 v44, 0x7f800000, v5
	v_dual_mov_b32 v45, v55 :: v_dual_mov_b32 v17, v55
	v_and_b32_e32 v16, 0x7fffff, v5
	v_lshrrev_b32_e32 v2, 24, v5
                                        ; implicit-def: $vgpr76
	s_mov_b32 s9, exec_lo
	v_cmpx_ne_u64_e32 0x7f800000, v[44:45]
	s_xor_b32 s22, exec_lo, s9
	s_cbranch_execz .LBB0_524
; %bb.511:                              ;   in Loop: Header=BB0_130 Depth=3
	v_and_b32_e32 v44, 0x7fffffff, v5
	v_mov_b32_e32 v45, v55
	v_and_b32_e32 v2, 0x80, v2
                                        ; implicit-def: $vgpr76
	s_mov_b32 s9, exec_lo
	s_delay_alu instid0(VALU_DEP_2)
	v_cmpx_gt_u64_e32 0x47600001, v[44:45]
	s_xor_b32 s23, exec_lo, s9
	s_cbranch_execz .LBB0_521
; %bb.512:                              ;   in Loop: Header=BB0_130 Depth=3
	v_mov_b32_e32 v76, 0
	s_mov_b32 s24, exec_lo
	v_cmpx_ne_u32_e32 0, v5
	s_cbranch_execz .LBB0_520
; %bb.513:                              ;   in Loop: Header=BB0_130 Depth=3
	v_bfe_u32 v5, v5, 23, 8
	v_or_b32_e32 v76, 0x800000, v16
	s_delay_alu instid0(VALU_DEP_2) | instskip(SKIP_1) | instid1(VALU_DEP_2)
	v_sub_nc_u32_e32 v19, 0x71, v5
	v_cmp_gt_u32_e32 vcc_lo, 0x72, v5
	v_cndmask_b32_e32 v19, 0, v19, vcc_lo
	v_cmp_eq_u32_e32 vcc_lo, 0, v5
	s_delay_alu instid0(VALU_DEP_2) | instskip(NEXT) | instid1(VALU_DEP_1)
	v_cndmask_b32_e64 v19, v19, 0x70, vcc_lo
	v_dual_cndmask_b32 v16, v76, v16, vcc_lo :: v_dual_add_nc_u32 v30, 21, v19
	s_delay_alu instid0(VALU_DEP_1) | instskip(SKIP_1) | instid1(VALU_DEP_1)
	v_lshlrev_b64_e64 v[44:45], v30, -1
	v_add_nc_u32_e32 v30, 20, v19
	v_lshlrev_b64_e64 v[76:77], v30, 1
	s_delay_alu instid0(VALU_DEP_3) | instskip(SKIP_2) | instid1(VALU_DEP_1)
	v_bfi_b32 v44, v44, 0, v16
	v_lshrrev_b64 v[16:17], v19, v[16:17]
	v_bfi_b32 v45, v45, 0, 0
	v_cmp_eq_u64_e64 s9, v[44:45], v[76:77]
	s_delay_alu instid0(VALU_DEP_3)
	v_mov_b64_e32 v[44:45], v[16:17]
	s_and_saveexec_b32 s25, s9
; %bb.514:                              ;   in Loop: Header=BB0_130 Depth=3
	v_bfe_u32 v44, v16, 21, 1
	v_mov_b32_e32 v45, v55
	s_delay_alu instid0(VALU_DEP_1) | instskip(NEXT) | instid1(VALU_DEP_1)
	v_add_nc_u64_e32 v[44:45], v[16:17], v[44:45]
	v_add_nc_u64_e32 v[44:45], -1, v[44:45]
; %bb.515:                              ;   in Loop: Header=BB0_130 Depth=3
	s_or_b32 exec_lo, exec_lo, s25
	v_add_nc_u32_e32 v5, 0xffffff81, v5
	v_lshrrev_b32_e32 v17, 23, v16
	s_mov_b32 s9, exec_lo
	s_delay_alu instid0(VALU_DEP_2) | instskip(NEXT) | instid1(VALU_DEP_1)
	v_cndmask_b32_e64 v5, v5, 0xffffff82, vcc_lo
	v_add3_u32 v19, v19, v5, v17
	v_and_b32_e32 v5, 0x1fffff, v44
	s_delay_alu instid0(VALU_DEP_2) | instskip(NEXT) | instid1(VALU_DEP_2)
	v_dual_mov_b32 v17, v55 :: v_dual_add_nc_u32 v30, 14, v19
	v_add_nc_u32_e32 v16, v5, v16
                                        ; implicit-def: $vgpr5
	s_delay_alu instid0(VALU_DEP_2)
	v_cmpx_ne_u32_e32 0, v30
	s_xor_b32 s9, exec_lo, s9
; %bb.516:                              ;   in Loop: Header=BB0_130 Depth=3
	s_delay_alu instid0(VALU_DEP_2) | instskip(SKIP_2) | instid1(VALU_DEP_2)
	v_cmp_lt_u64_e32 vcc_lo, 0xffffff, v[16:17]
	v_add_nc_u32_e32 v5, 15, v19
	v_cndmask_b32_e64 v19, 0, 1, vcc_lo
	v_cndmask_b32_e32 v5, v30, v5, vcc_lo
	s_delay_alu instid0(VALU_DEP_2)
	v_lshrrev_b64 v[16:17], v19, v[16:17]
; %bb.517:                              ;   in Loop: Header=BB0_130 Depth=3
	s_and_not1_saveexec_b32 s9, s9
; %bb.518:                              ;   in Loop: Header=BB0_130 Depth=3
	s_delay_alu instid0(VALU_DEP_1)
	v_bfe_u32 v5, v16, 23, 1
; %bb.519:                              ;   in Loop: Header=BB0_130 Depth=3
	s_or_b32 exec_lo, exec_lo, s9
	s_delay_alu instid0(VALU_DEP_2) | instskip(NEXT) | instid1(VALU_DEP_2)
	v_lshrrev_b64 v[16:17], 21, v[16:17]
	v_cmp_gt_i32_e32 vcc_lo, 32, v5
	v_min_i32_e32 v19, 31, v5
	v_cmp_eq_u32_e64 s9, 0, v5
	s_delay_alu instid0(VALU_DEP_2) | instskip(SKIP_1) | instid1(VALU_DEP_2)
	v_dual_cndmask_b32 v16, 3, v16 :: v_dual_lshlrev_b32 v19, 2, v19
	v_cndmask_b32_e32 v17, 0, v17, vcc_lo
	v_and_b32_e32 v19, 0xfc, v19
	s_delay_alu instid0(VALU_DEP_2) | instskip(NEXT) | instid1(VALU_DEP_2)
	v_cmp_eq_u64_e32 vcc_lo, 0, v[16:17]
	v_and_or_b32 v5, v16, 3, v19
	s_and_b32 s9, s9, vcc_lo
	s_delay_alu instid0(VALU_DEP_1) | instid1(SALU_CYCLE_1)
	v_cndmask_b32_e64 v5, v5, 0, s9
	s_delay_alu instid0(VALU_DEP_1)
	v_or_b32_e32 v76, v5, v2
.LBB0_520:                              ;   in Loop: Header=BB0_130 Depth=3
	s_or_b32 exec_lo, exec_lo, s24
                                        ; implicit-def: $vgpr2
.LBB0_521:                              ;   in Loop: Header=BB0_130 Depth=3
	s_and_not1_saveexec_b32 s9, s23
; %bb.522:                              ;   in Loop: Header=BB0_130 Depth=3
	v_or_b32_e32 v76, 0x7b, v2
; %bb.523:                              ;   in Loop: Header=BB0_130 Depth=3
	s_or_b32 exec_lo, exec_lo, s9
                                        ; implicit-def: $vgpr5
                                        ; implicit-def: $vgpr16_vgpr17
                                        ; implicit-def: $vgpr2
.LBB0_524:                              ;   in Loop: Header=BB0_130 Depth=3
	s_and_not1_saveexec_b32 s9, s22
	s_cbranch_execz .LBB0_530
; %bb.525:                              ;   in Loop: Header=BB0_130 Depth=3
	s_mov_b32 s22, exec_lo
                                        ; implicit-def: $vgpr76
	v_cmpx_ne_u64_e32 0, v[16:17]
	s_xor_b32 s22, exec_lo, s22
; %bb.526:                              ;   in Loop: Header=BB0_130 Depth=3
	v_or_b32_e32 v76, 0x7f, v2
                                        ; implicit-def: $vgpr5
; %bb.527:                              ;   in Loop: Header=BB0_130 Depth=3
	s_and_not1_saveexec_b32 s22, s22
; %bb.528:                              ;   in Loop: Header=BB0_130 Depth=3
	v_cmp_lt_i32_e32 vcc_lo, -1, v5
	v_cndmask_b32_e32 v76, 0xfc, v58, vcc_lo
; %bb.529:                              ;   in Loop: Header=BB0_130 Depth=3
	s_or_b32 exec_lo, exec_lo, s22
.LBB0_530:                              ;   in Loop: Header=BB0_130 Depth=3
	s_delay_alu instid0(SALU_CYCLE_1) | instskip(SKIP_1) | instid1(VALU_DEP_1)
	s_or_b32 exec_lo, exec_lo, s9
	v_dual_lshrrev_b32 v16, 16, v18 :: v_dual_lshrrev_b32 v2, 16, v4
                                        ; implicit-def: $vgpr5
	v_and_b32_e32 v19, 0xff, v16
	s_delay_alu instid0(VALU_DEP_1) | instskip(SKIP_1) | instid1(SALU_CYCLE_1)
	v_cmp_ne_u16_e32 vcc_lo, 0, v19
	s_and_saveexec_b32 s9, s6
	s_xor_b32 s22, exec_lo, s9
	s_cbranch_execz .LBB0_552
; %bb.531:                              ;   in Loop: Header=BB0_130 Depth=3
	v_dual_mov_b32 v17, 0 :: v_dual_mov_b32 v5, 0
	s_and_saveexec_b32 s23, vcc_lo
	s_cbranch_execz .LBB0_541
; %bb.532:                              ;   in Loop: Header=BB0_130 Depth=3
	v_bfrev_b32_e32 v5, 1
	s_mov_b32 s24, exec_lo
	v_cmpx_ne_u16_e32 0x80, v19
	s_cbranch_execz .LBB0_540
; %bb.533:                              ;   in Loop: Header=BB0_130 Depth=3
	v_and_b32_e32 v5, 0x7c0000, v18
	v_bfe_u32 v19, v18, 16, 2
	s_delay_alu instid0(VALU_DEP_2) | instskip(SKIP_1) | instid1(SALU_CYCLE_1)
	v_cmp_ne_u32_e64 s9, 0x7c0000, v5
                                        ; implicit-def: $vgpr5
	s_and_saveexec_b32 s25, s9
	s_xor_b32 s25, exec_lo, s25
	s_cbranch_execz .LBB0_537
; %bb.534:                              ;   in Loop: Header=BB0_130 Depth=3
	v_bfe_u32 v5, v18, 18, 5
	s_mov_b32 s26, exec_lo
	s_delay_alu instid0(VALU_DEP_1)
	v_cmpx_eq_u32_e32 0, v5
; %bb.535:                              ;   in Loop: Header=BB0_130 Depth=3
	v_clz_i32_u32_e32 v5, v19
	s_delay_alu instid0(VALU_DEP_1) | instskip(NEXT) | instid1(VALU_DEP_1)
	v_min_u32_e32 v5, 32, v5
	v_subrev_nc_u32_e32 v19, 29, v5
	s_delay_alu instid0(VALU_DEP_1) | instskip(NEXT) | instid1(VALU_DEP_1)
	v_lshlrev_b64_e32 v[44:45], v19, v[16:17]
	v_dual_sub_nc_u32 v5, 30, v5 :: v_dual_bitop2_b32 v19, 3, v44 bitop3:0x40
; %bb.536:                              ;   in Loop: Header=BB0_130 Depth=3
	s_or_b32 exec_lo, exec_lo, s26
	v_lshlrev_b32_e32 v16, 24, v16
	s_delay_alu instid0(VALU_DEP_1) | instskip(NEXT) | instid1(VALU_DEP_1)
	v_and_b32_e32 v16, 0x80000000, v16
	v_lshl_add_u32 v5, v5, 23, v16
                                        ; implicit-def: $vgpr16
	s_delay_alu instid0(VALU_DEP_1) | instskip(NEXT) | instid1(VALU_DEP_1)
	v_lshl_or_b32 v5, v19, 21, v5
                                        ; implicit-def: $vgpr19
	v_add_nc_u32_e32 v5, 0x38000000, v5
.LBB0_537:                              ;   in Loop: Header=BB0_130 Depth=3
	s_and_not1_saveexec_b32 s25, s25
; %bb.538:                              ;   in Loop: Header=BB0_130 Depth=3
	v_bfe_i32 v5, v16, 0, 8
	s_delay_alu instid0(VALU_DEP_1) | instskip(NEXT) | instid1(VALU_DEP_1)
	v_cmp_lt_i16_e64 s9, -1, v5
	v_cndmask_b32_e64 v5, 0xff800000, v21, s9
	v_cmp_eq_u32_e64 s9, 0, v19
	s_delay_alu instid0(VALU_DEP_1)
	v_cndmask_b32_e64 v5, 0x7f800001, v5, s9
; %bb.539:                              ;   in Loop: Header=BB0_130 Depth=3
	s_or_b32 exec_lo, exec_lo, s25
.LBB0_540:                              ;   in Loop: Header=BB0_130 Depth=3
	s_delay_alu instid0(SALU_CYCLE_1)
	s_or_b32 exec_lo, exec_lo, s24
.LBB0_541:                              ;   in Loop: Header=BB0_130 Depth=3
	s_delay_alu instid0(SALU_CYCLE_1) | instskip(SKIP_2) | instid1(VALU_DEP_1)
	s_or_b32 exec_lo, exec_lo, s23
	v_and_b32_e32 v16, 0xff, v2
	s_mov_b32 s23, exec_lo
	v_cmpx_ne_u16_e32 0, v16
	s_cbranch_execz .LBB0_551
; %bb.542:                              ;   in Loop: Header=BB0_130 Depth=3
	v_bfrev_b32_e32 v17, 1
	s_mov_b32 s24, exec_lo
	v_cmpx_ne_u16_e32 0x80, v16
	s_cbranch_execz .LBB0_550
; %bb.543:                              ;   in Loop: Header=BB0_130 Depth=3
	v_and_b32_e32 v17, 0x7c0000, v4
	v_bfe_u32 v16, v4, 16, 2
	s_delay_alu instid0(VALU_DEP_2) | instskip(SKIP_1) | instid1(SALU_CYCLE_1)
	v_cmp_ne_u32_e64 s9, 0x7c0000, v17
                                        ; implicit-def: $vgpr17
	s_and_saveexec_b32 s25, s9
	s_xor_b32 s25, exec_lo, s25
	s_cbranch_execz .LBB0_547
; %bb.544:                              ;   in Loop: Header=BB0_130 Depth=3
	v_bfe_u32 v17, v4, 18, 5
	s_mov_b32 s26, exec_lo
	s_delay_alu instid0(VALU_DEP_1)
	v_cmpx_eq_u32_e32 0, v17
; %bb.545:                              ;   in Loop: Header=BB0_130 Depth=3
	v_clz_i32_u32_e32 v16, v16
	s_delay_alu instid0(VALU_DEP_1) | instskip(NEXT) | instid1(VALU_DEP_1)
	v_min_u32_e32 v19, 32, v16
	v_subrev_nc_u32_e32 v16, 29, v19
	s_delay_alu instid0(VALU_DEP_1) | instskip(NEXT) | instid1(VALU_DEP_1)
	v_lshlrev_b64_e32 v[16:17], v16, v[2:3]
	v_dual_sub_nc_u32 v17, 30, v19 :: v_dual_bitop2_b32 v16, 3, v16 bitop3:0x40
; %bb.546:                              ;   in Loop: Header=BB0_130 Depth=3
	s_or_b32 exec_lo, exec_lo, s26
	v_lshlrev_b32_e32 v2, 24, v2
	s_delay_alu instid0(VALU_DEP_1) | instskip(NEXT) | instid1(VALU_DEP_1)
	v_and_b32_e32 v2, 0x80000000, v2
	v_lshl_add_u32 v2, v17, 23, v2
	s_delay_alu instid0(VALU_DEP_1) | instskip(NEXT) | instid1(VALU_DEP_1)
	v_lshl_or_b32 v2, v16, 21, v2
                                        ; implicit-def: $vgpr16
	v_add_nc_u32_e32 v17, 0x38000000, v2
                                        ; implicit-def: $vgpr2
.LBB0_547:                              ;   in Loop: Header=BB0_130 Depth=3
	s_and_not1_saveexec_b32 s25, s25
; %bb.548:                              ;   in Loop: Header=BB0_130 Depth=3
	v_bfe_i32 v2, v2, 0, 8
	s_delay_alu instid0(VALU_DEP_1) | instskip(NEXT) | instid1(VALU_DEP_1)
	v_cmp_lt_i16_e64 s9, -1, v2
	v_cndmask_b32_e64 v2, 0xff800000, v21, s9
	v_cmp_eq_u32_e64 s9, 0, v16
	s_delay_alu instid0(VALU_DEP_1)
	v_cndmask_b32_e64 v17, 0x7f800001, v2, s9
; %bb.549:                              ;   in Loop: Header=BB0_130 Depth=3
	s_or_b32 exec_lo, exec_lo, s25
.LBB0_550:                              ;   in Loop: Header=BB0_130 Depth=3
	s_delay_alu instid0(SALU_CYCLE_1)
	s_or_b32 exec_lo, exec_lo, s24
.LBB0_551:                              ;   in Loop: Header=BB0_130 Depth=3
	s_delay_alu instid0(SALU_CYCLE_1) | instskip(NEXT) | instid1(VALU_DEP_1)
	s_or_b32 exec_lo, exec_lo, s23
	v_max_num_f32_e32 v2, v17, v17
	v_max_num_f32_e32 v5, v5, v5
                                        ; implicit-def: $vgpr19
                                        ; implicit-def: $vgpr16
	s_delay_alu instid0(VALU_DEP_1)
	v_max_num_f32_e32 v5, v5, v2
                                        ; implicit-def: $vgpr2
.LBB0_552:                              ;   in Loop: Header=BB0_130 Depth=3
	s_and_not1_saveexec_b32 s9, s22
	s_cbranch_execz .LBB0_574
; %bb.553:                              ;   in Loop: Header=BB0_130 Depth=3
	v_dual_mov_b32 v17, 0 :: v_dual_mov_b32 v5, 0
	s_and_saveexec_b32 s22, vcc_lo
	s_cbranch_execz .LBB0_563
; %bb.554:                              ;   in Loop: Header=BB0_130 Depth=3
	v_bfrev_b32_e32 v5, 1
	s_mov_b32 s23, exec_lo
	v_cmpx_ne_u16_e32 0x80, v19
	s_cbranch_execz .LBB0_562
; %bb.555:                              ;   in Loop: Header=BB0_130 Depth=3
	v_and_b32_e32 v5, 0x7c0000, v18
	v_bfe_u32 v19, v18, 16, 2
	s_delay_alu instid0(VALU_DEP_2) | instskip(SKIP_1) | instid1(SALU_CYCLE_1)
	v_cmp_ne_u32_e32 vcc_lo, 0x7c0000, v5
                                        ; implicit-def: $vgpr5
	s_and_saveexec_b32 s24, vcc_lo
	s_xor_b32 s24, exec_lo, s24
	s_cbranch_execz .LBB0_559
; %bb.556:                              ;   in Loop: Header=BB0_130 Depth=3
	v_bfe_u32 v5, v18, 18, 5
	s_mov_b32 s25, exec_lo
	s_delay_alu instid0(VALU_DEP_1)
	v_cmpx_eq_u32_e32 0, v5
; %bb.557:                              ;   in Loop: Header=BB0_130 Depth=3
	v_clz_i32_u32_e32 v5, v19
	s_delay_alu instid0(VALU_DEP_1) | instskip(NEXT) | instid1(VALU_DEP_1)
	v_min_u32_e32 v5, 32, v5
	v_subrev_nc_u32_e32 v19, 29, v5
	s_delay_alu instid0(VALU_DEP_1) | instskip(NEXT) | instid1(VALU_DEP_1)
	v_lshlrev_b64_e32 v[44:45], v19, v[16:17]
	v_dual_sub_nc_u32 v5, 30, v5 :: v_dual_bitop2_b32 v19, 3, v44 bitop3:0x40
; %bb.558:                              ;   in Loop: Header=BB0_130 Depth=3
	s_or_b32 exec_lo, exec_lo, s25
	v_lshlrev_b32_e32 v16, 24, v16
	s_delay_alu instid0(VALU_DEP_1) | instskip(NEXT) | instid1(VALU_DEP_1)
	v_and_b32_e32 v16, 0x80000000, v16
	v_lshl_add_u32 v5, v5, 23, v16
                                        ; implicit-def: $vgpr16
	s_delay_alu instid0(VALU_DEP_1) | instskip(NEXT) | instid1(VALU_DEP_1)
	v_lshl_or_b32 v5, v19, 21, v5
                                        ; implicit-def: $vgpr19
	v_add_nc_u32_e32 v5, 0x38000000, v5
.LBB0_559:                              ;   in Loop: Header=BB0_130 Depth=3
	s_and_not1_saveexec_b32 s24, s24
; %bb.560:                              ;   in Loop: Header=BB0_130 Depth=3
	v_bfe_i32 v5, v16, 0, 8
	s_delay_alu instid0(VALU_DEP_1) | instskip(SKIP_2) | instid1(VALU_DEP_2)
	v_cmp_lt_i16_e32 vcc_lo, -1, v5
	v_cndmask_b32_e32 v5, 0xff800000, v21, vcc_lo
	v_cmp_eq_u32_e32 vcc_lo, 0, v19
	v_cndmask_b32_e32 v5, 0x7f800001, v5, vcc_lo
; %bb.561:                              ;   in Loop: Header=BB0_130 Depth=3
	s_or_b32 exec_lo, exec_lo, s24
.LBB0_562:                              ;   in Loop: Header=BB0_130 Depth=3
	s_delay_alu instid0(SALU_CYCLE_1)
	s_or_b32 exec_lo, exec_lo, s23
.LBB0_563:                              ;   in Loop: Header=BB0_130 Depth=3
	s_delay_alu instid0(SALU_CYCLE_1) | instskip(SKIP_2) | instid1(VALU_DEP_1)
	s_or_b32 exec_lo, exec_lo, s22
	v_and_b32_e32 v16, 0xff, v2
	s_mov_b32 s22, exec_lo
	v_cmpx_ne_u16_e32 0, v16
	s_cbranch_execz .LBB0_573
; %bb.564:                              ;   in Loop: Header=BB0_130 Depth=3
	v_bfrev_b32_e32 v17, 1
	s_mov_b32 s23, exec_lo
	v_cmpx_ne_u16_e32 0x80, v16
	s_cbranch_execz .LBB0_572
; %bb.565:                              ;   in Loop: Header=BB0_130 Depth=3
	v_and_b32_e32 v17, 0x7c0000, v4
	v_bfe_u32 v16, v4, 16, 2
	s_delay_alu instid0(VALU_DEP_2) | instskip(SKIP_1) | instid1(SALU_CYCLE_1)
	v_cmp_ne_u32_e32 vcc_lo, 0x7c0000, v17
                                        ; implicit-def: $vgpr17
	s_and_saveexec_b32 s24, vcc_lo
	s_xor_b32 s24, exec_lo, s24
	s_cbranch_execz .LBB0_569
; %bb.566:                              ;   in Loop: Header=BB0_130 Depth=3
	v_bfe_u32 v17, v4, 18, 5
	s_mov_b32 s25, exec_lo
	s_delay_alu instid0(VALU_DEP_1)
	v_cmpx_eq_u32_e32 0, v17
; %bb.567:                              ;   in Loop: Header=BB0_130 Depth=3
	v_clz_i32_u32_e32 v16, v16
	s_delay_alu instid0(VALU_DEP_1) | instskip(NEXT) | instid1(VALU_DEP_1)
	v_min_u32_e32 v19, 32, v16
	v_subrev_nc_u32_e32 v16, 29, v19
	s_delay_alu instid0(VALU_DEP_1) | instskip(NEXT) | instid1(VALU_DEP_1)
	v_lshlrev_b64_e32 v[16:17], v16, v[2:3]
	v_dual_sub_nc_u32 v17, 30, v19 :: v_dual_bitop2_b32 v16, 3, v16 bitop3:0x40
; %bb.568:                              ;   in Loop: Header=BB0_130 Depth=3
	s_or_b32 exec_lo, exec_lo, s25
	v_lshlrev_b32_e32 v2, 24, v2
	s_delay_alu instid0(VALU_DEP_1) | instskip(NEXT) | instid1(VALU_DEP_1)
	v_and_b32_e32 v2, 0x80000000, v2
	v_lshl_add_u32 v2, v17, 23, v2
	s_delay_alu instid0(VALU_DEP_1) | instskip(NEXT) | instid1(VALU_DEP_1)
	v_lshl_or_b32 v2, v16, 21, v2
                                        ; implicit-def: $vgpr16
	v_add_nc_u32_e32 v17, 0x38000000, v2
                                        ; implicit-def: $vgpr2
.LBB0_569:                              ;   in Loop: Header=BB0_130 Depth=3
	s_and_not1_saveexec_b32 s24, s24
; %bb.570:                              ;   in Loop: Header=BB0_130 Depth=3
	v_bfe_i32 v2, v2, 0, 8
	s_delay_alu instid0(VALU_DEP_1) | instskip(SKIP_2) | instid1(VALU_DEP_2)
	v_cmp_lt_i16_e32 vcc_lo, -1, v2
	v_cndmask_b32_e32 v2, 0xff800000, v21, vcc_lo
	v_cmp_eq_u32_e32 vcc_lo, 0, v16
	v_cndmask_b32_e32 v17, 0x7f800001, v2, vcc_lo
; %bb.571:                              ;   in Loop: Header=BB0_130 Depth=3
	s_or_b32 exec_lo, exec_lo, s24
.LBB0_572:                              ;   in Loop: Header=BB0_130 Depth=3
	s_delay_alu instid0(SALU_CYCLE_1)
	s_or_b32 exec_lo, exec_lo, s23
.LBB0_573:                              ;   in Loop: Header=BB0_130 Depth=3
	s_delay_alu instid0(SALU_CYCLE_1) | instskip(NEXT) | instid1(VALU_DEP_1)
	s_or_b32 exec_lo, exec_lo, s22
	v_max_num_f32_e32 v2, v17, v17
	v_max_num_f32_e32 v5, v5, v5
	s_delay_alu instid0(VALU_DEP_1)
	v_min_num_f32_e32 v5, v5, v2
.LBB0_574:                              ;   in Loop: Header=BB0_130 Depth=3
	s_or_b32 exec_lo, exec_lo, s9
	s_delay_alu instid0(VALU_DEP_1) | instskip(SKIP_4) | instid1(VALU_DEP_3)
	v_and_b32_e32 v44, 0x7f800000, v5
	v_dual_mov_b32 v45, v55 :: v_dual_mov_b32 v17, v55
	v_and_b32_e32 v16, 0x7fffff, v5
	v_lshrrev_b32_e32 v2, 24, v5
                                        ; implicit-def: $vgpr77
	s_mov_b32 s9, exec_lo
	v_cmpx_ne_u64_e32 0x7f800000, v[44:45]
	s_xor_b32 s22, exec_lo, s9
	s_cbranch_execz .LBB0_588
; %bb.575:                              ;   in Loop: Header=BB0_130 Depth=3
	v_and_b32_e32 v44, 0x7fffffff, v5
	v_mov_b32_e32 v45, v55
	v_and_b32_e32 v2, 0x80, v2
                                        ; implicit-def: $vgpr77
	s_mov_b32 s9, exec_lo
	s_delay_alu instid0(VALU_DEP_2)
	v_cmpx_gt_u64_e32 0x47600001, v[44:45]
	s_xor_b32 s23, exec_lo, s9
	s_cbranch_execz .LBB0_585
; %bb.576:                              ;   in Loop: Header=BB0_130 Depth=3
	v_mov_b32_e32 v77, 0
	s_mov_b32 s24, exec_lo
	v_cmpx_ne_u32_e32 0, v5
	s_cbranch_execz .LBB0_584
; %bb.577:                              ;   in Loop: Header=BB0_130 Depth=3
	v_bfe_u32 v5, v5, 23, 8
	v_or_b32_e32 v77, 0x800000, v16
	s_delay_alu instid0(VALU_DEP_2) | instskip(SKIP_1) | instid1(VALU_DEP_2)
	v_sub_nc_u32_e32 v19, 0x71, v5
	v_cmp_gt_u32_e32 vcc_lo, 0x72, v5
	v_cndmask_b32_e32 v19, 0, v19, vcc_lo
	v_cmp_eq_u32_e32 vcc_lo, 0, v5
	s_delay_alu instid0(VALU_DEP_2) | instskip(NEXT) | instid1(VALU_DEP_1)
	v_cndmask_b32_e64 v19, v19, 0x70, vcc_lo
	v_dual_cndmask_b32 v16, v77, v16, vcc_lo :: v_dual_add_nc_u32 v30, 21, v19
	s_delay_alu instid0(VALU_DEP_1) | instskip(SKIP_1) | instid1(VALU_DEP_1)
	v_lshlrev_b64_e64 v[44:45], v30, -1
	v_add_nc_u32_e32 v30, 20, v19
	v_lshlrev_b64_e64 v[78:79], v30, 1
	s_delay_alu instid0(VALU_DEP_3) | instskip(SKIP_2) | instid1(VALU_DEP_1)
	v_bfi_b32 v44, v44, 0, v16
	v_lshrrev_b64 v[16:17], v19, v[16:17]
	v_bfi_b32 v45, v45, 0, 0
	v_cmp_eq_u64_e64 s9, v[44:45], v[78:79]
	s_delay_alu instid0(VALU_DEP_3)
	v_mov_b64_e32 v[44:45], v[16:17]
	s_and_saveexec_b32 s25, s9
; %bb.578:                              ;   in Loop: Header=BB0_130 Depth=3
	v_bfe_u32 v44, v16, 21, 1
	v_mov_b32_e32 v45, v55
	s_delay_alu instid0(VALU_DEP_1) | instskip(NEXT) | instid1(VALU_DEP_1)
	v_add_nc_u64_e32 v[44:45], v[16:17], v[44:45]
	v_add_nc_u64_e32 v[44:45], -1, v[44:45]
; %bb.579:                              ;   in Loop: Header=BB0_130 Depth=3
	s_or_b32 exec_lo, exec_lo, s25
	v_add_nc_u32_e32 v5, 0xffffff81, v5
	v_lshrrev_b32_e32 v17, 23, v16
	s_mov_b32 s9, exec_lo
	s_delay_alu instid0(VALU_DEP_2) | instskip(NEXT) | instid1(VALU_DEP_1)
	v_cndmask_b32_e64 v5, v5, 0xffffff82, vcc_lo
	v_add3_u32 v19, v19, v5, v17
	v_and_b32_e32 v5, 0x1fffff, v44
	s_delay_alu instid0(VALU_DEP_2) | instskip(NEXT) | instid1(VALU_DEP_2)
	v_dual_mov_b32 v17, v55 :: v_dual_add_nc_u32 v30, 14, v19
	v_add_nc_u32_e32 v16, v5, v16
                                        ; implicit-def: $vgpr5
	s_delay_alu instid0(VALU_DEP_2)
	v_cmpx_ne_u32_e32 0, v30
	s_xor_b32 s9, exec_lo, s9
; %bb.580:                              ;   in Loop: Header=BB0_130 Depth=3
	s_delay_alu instid0(VALU_DEP_2) | instskip(SKIP_2) | instid1(VALU_DEP_2)
	v_cmp_lt_u64_e32 vcc_lo, 0xffffff, v[16:17]
	v_add_nc_u32_e32 v5, 15, v19
	v_cndmask_b32_e64 v19, 0, 1, vcc_lo
	v_cndmask_b32_e32 v5, v30, v5, vcc_lo
	s_delay_alu instid0(VALU_DEP_2)
	v_lshrrev_b64 v[16:17], v19, v[16:17]
; %bb.581:                              ;   in Loop: Header=BB0_130 Depth=3
	s_and_not1_saveexec_b32 s9, s9
; %bb.582:                              ;   in Loop: Header=BB0_130 Depth=3
	s_delay_alu instid0(VALU_DEP_1)
	v_bfe_u32 v5, v16, 23, 1
; %bb.583:                              ;   in Loop: Header=BB0_130 Depth=3
	s_or_b32 exec_lo, exec_lo, s9
	s_delay_alu instid0(VALU_DEP_2) | instskip(NEXT) | instid1(VALU_DEP_2)
	v_lshrrev_b64 v[16:17], 21, v[16:17]
	v_cmp_gt_i32_e32 vcc_lo, 32, v5
	v_min_i32_e32 v19, 31, v5
	v_cmp_eq_u32_e64 s9, 0, v5
	s_delay_alu instid0(VALU_DEP_2) | instskip(SKIP_1) | instid1(VALU_DEP_2)
	v_dual_cndmask_b32 v16, 3, v16 :: v_dual_lshlrev_b32 v19, 2, v19
	v_cndmask_b32_e32 v17, 0, v17, vcc_lo
	v_and_b32_e32 v19, 0xfc, v19
	s_delay_alu instid0(VALU_DEP_2) | instskip(NEXT) | instid1(VALU_DEP_2)
	v_cmp_eq_u64_e32 vcc_lo, 0, v[16:17]
	v_and_or_b32 v5, v16, 3, v19
	s_and_b32 s9, s9, vcc_lo
	s_delay_alu instid0(VALU_DEP_1) | instid1(SALU_CYCLE_1)
	v_cndmask_b32_e64 v5, v5, 0, s9
	s_delay_alu instid0(VALU_DEP_1)
	v_or_b32_e32 v77, v5, v2
.LBB0_584:                              ;   in Loop: Header=BB0_130 Depth=3
	s_or_b32 exec_lo, exec_lo, s24
                                        ; implicit-def: $vgpr2
.LBB0_585:                              ;   in Loop: Header=BB0_130 Depth=3
	s_and_not1_saveexec_b32 s9, s23
; %bb.586:                              ;   in Loop: Header=BB0_130 Depth=3
	v_or_b32_e32 v77, 0x7b, v2
; %bb.587:                              ;   in Loop: Header=BB0_130 Depth=3
	s_or_b32 exec_lo, exec_lo, s9
                                        ; implicit-def: $vgpr5
                                        ; implicit-def: $vgpr16_vgpr17
                                        ; implicit-def: $vgpr2
.LBB0_588:                              ;   in Loop: Header=BB0_130 Depth=3
	s_and_not1_saveexec_b32 s9, s22
	s_cbranch_execz .LBB0_594
; %bb.589:                              ;   in Loop: Header=BB0_130 Depth=3
	s_mov_b32 s22, exec_lo
                                        ; implicit-def: $vgpr77
	v_cmpx_ne_u64_e32 0, v[16:17]
	s_xor_b32 s22, exec_lo, s22
; %bb.590:                              ;   in Loop: Header=BB0_130 Depth=3
	v_or_b32_e32 v77, 0x7f, v2
                                        ; implicit-def: $vgpr5
; %bb.591:                              ;   in Loop: Header=BB0_130 Depth=3
	s_and_not1_saveexec_b32 s22, s22
; %bb.592:                              ;   in Loop: Header=BB0_130 Depth=3
	v_cmp_lt_i32_e32 vcc_lo, -1, v5
	v_cndmask_b32_e32 v77, 0xfc, v58, vcc_lo
; %bb.593:                              ;   in Loop: Header=BB0_130 Depth=3
	s_or_b32 exec_lo, exec_lo, s22
.LBB0_594:                              ;   in Loop: Header=BB0_130 Depth=3
	s_delay_alu instid0(SALU_CYCLE_1) | instskip(SKIP_3) | instid1(VALU_DEP_3)
	s_or_b32 exec_lo, exec_lo, s9
	v_dual_mov_b32 v44, v55 :: v_dual_mov_b32 v45, v18
	v_dual_lshrrev_b32 v30, 24, v18 :: v_dual_lshrrev_b32 v2, 24, v4
	v_dual_mov_b32 v16, v55 :: v_dual_mov_b32 v17, v4
	v_cmp_lt_u64_e32 vcc_lo, s[12:13], v[44:45]
                                        ; implicit-def: $vgpr78
	s_and_saveexec_b32 s9, s6
	s_delay_alu instid0(SALU_CYCLE_1)
	s_xor_b32 s22, exec_lo, s9
	s_cbranch_execz .LBB0_616
; %bb.595:                              ;   in Loop: Header=BB0_130 Depth=3
	v_dual_mov_b32 v19, 0 :: v_dual_mov_b32 v5, 0
	s_and_saveexec_b32 s23, vcc_lo
	s_cbranch_execz .LBB0_605
; %bb.596:                              ;   in Loop: Header=BB0_130 Depth=3
	v_bfrev_b32_e32 v5, 1
	s_mov_b32 s24, exec_lo
	v_cmpx_ne_u32_e32 0x80, v30
	s_cbranch_execz .LBB0_604
; %bb.597:                              ;   in Loop: Header=BB0_130 Depth=3
	v_and_b32_e32 v5, 0x7c000000, v18
	v_bfe_u32 v78, v18, 24, 2
	s_delay_alu instid0(VALU_DEP_2) | instskip(SKIP_1) | instid1(SALU_CYCLE_1)
	v_cmp_ne_u32_e64 s9, 0x7c000000, v5
                                        ; implicit-def: $vgpr5
	s_and_saveexec_b32 s25, s9
	s_xor_b32 s25, exec_lo, s25
	s_cbranch_execz .LBB0_601
; %bb.598:                              ;   in Loop: Header=BB0_130 Depth=3
	v_bfe_u32 v5, v18, 26, 5
	s_mov_b32 s26, exec_lo
	s_delay_alu instid0(VALU_DEP_1)
	v_cmpx_eq_u32_e32 0, v5
; %bb.599:                              ;   in Loop: Header=BB0_130 Depth=3
	v_clz_i32_u32_e32 v5, v78
	s_delay_alu instid0(VALU_DEP_1) | instskip(NEXT) | instid1(VALU_DEP_1)
	v_min_u32_e32 v5, 32, v5
	v_subrev_nc_u32_e32 v44, 29, v5
	s_delay_alu instid0(VALU_DEP_1) | instskip(NEXT) | instid1(VALU_DEP_1)
	v_lshlrev_b64_e32 v[44:45], v44, v[30:31]
	v_dual_sub_nc_u32 v5, 30, v5 :: v_dual_bitop2_b32 v78, 3, v44 bitop3:0x40
; %bb.600:                              ;   in Loop: Header=BB0_130 Depth=3
	s_or_b32 exec_lo, exec_lo, s26
	v_and_b32_e32 v18, 0x80000000, v18
                                        ; implicit-def: $vgpr44_vgpr45
	s_delay_alu instid0(VALU_DEP_1) | instskip(NEXT) | instid1(VALU_DEP_1)
	v_lshl_add_u32 v5, v5, 23, v18
	v_lshl_or_b32 v5, v78, 21, v5
                                        ; implicit-def: $vgpr78
	s_delay_alu instid0(VALU_DEP_1)
	v_add_nc_u32_e32 v5, 0x38000000, v5
.LBB0_601:                              ;   in Loop: Header=BB0_130 Depth=3
	s_and_not1_saveexec_b32 s25, s25
; %bb.602:                              ;   in Loop: Header=BB0_130 Depth=3
	v_cmp_lt_i64_e64 s9, -1, v[44:45]
	s_delay_alu instid0(VALU_DEP_1) | instskip(SKIP_1) | instid1(VALU_DEP_1)
	v_cndmask_b32_e64 v5, 0xff800000, v21, s9
	v_cmp_eq_u32_e64 s9, 0, v78
	v_cndmask_b32_e64 v5, 0x7f800001, v5, s9
; %bb.603:                              ;   in Loop: Header=BB0_130 Depth=3
	s_or_b32 exec_lo, exec_lo, s25
.LBB0_604:                              ;   in Loop: Header=BB0_130 Depth=3
	s_delay_alu instid0(SALU_CYCLE_1)
	s_or_b32 exec_lo, exec_lo, s24
.LBB0_605:                              ;   in Loop: Header=BB0_130 Depth=3
	s_delay_alu instid0(SALU_CYCLE_1) | instskip(NEXT) | instid1(SALU_CYCLE_1)
	s_or_b32 exec_lo, exec_lo, s23
	s_mov_b32 s23, exec_lo
	v_cmpx_lt_u32_e32 0xffffff, v4
	s_cbranch_execz .LBB0_615
; %bb.606:                              ;   in Loop: Header=BB0_130 Depth=3
	v_bfrev_b32_e32 v19, 1
	s_mov_b32 s24, exec_lo
	v_cmpx_ne_u32_e32 0x80, v2
	s_cbranch_execz .LBB0_614
; %bb.607:                              ;   in Loop: Header=BB0_130 Depth=3
	v_and_b32_e32 v19, 0x7c000000, v4
	v_bfe_u32 v18, v4, 24, 2
	s_delay_alu instid0(VALU_DEP_2) | instskip(SKIP_1) | instid1(SALU_CYCLE_1)
	v_cmp_ne_u32_e64 s9, 0x7c000000, v19
                                        ; implicit-def: $vgpr19
	s_and_saveexec_b32 s25, s9
	s_xor_b32 s25, exec_lo, s25
	s_cbranch_execz .LBB0_611
; %bb.608:                              ;   in Loop: Header=BB0_130 Depth=3
	v_bfe_u32 v16, v4, 26, 5
	s_mov_b32 s26, exec_lo
	s_delay_alu instid0(VALU_DEP_1)
	v_cmpx_eq_u32_e32 0, v16
; %bb.609:                              ;   in Loop: Header=BB0_130 Depth=3
	v_clz_i32_u32_e32 v16, v18
	s_delay_alu instid0(VALU_DEP_1) | instskip(NEXT) | instid1(VALU_DEP_1)
	v_min_u32_e32 v16, 32, v16
	v_subrev_nc_u32_e32 v17, 29, v16
	s_delay_alu instid0(VALU_DEP_1) | instskip(NEXT) | instid1(VALU_DEP_1)
	v_lshlrev_b64_e32 v[18:19], v17, v[2:3]
	v_dual_sub_nc_u32 v16, 30, v16 :: v_dual_bitop2_b32 v18, 3, v18 bitop3:0x40
; %bb.610:                              ;   in Loop: Header=BB0_130 Depth=3
	s_or_b32 exec_lo, exec_lo, s26
	v_and_b32_e32 v2, 0x80000000, v4
	s_delay_alu instid0(VALU_DEP_1) | instskip(NEXT) | instid1(VALU_DEP_1)
	v_lshl_add_u32 v2, v16, 23, v2
                                        ; implicit-def: $vgpr16_vgpr17
	v_lshl_or_b32 v2, v18, 21, v2
                                        ; implicit-def: $vgpr18
	s_delay_alu instid0(VALU_DEP_1)
	v_add_nc_u32_e32 v19, 0x38000000, v2
.LBB0_611:                              ;   in Loop: Header=BB0_130 Depth=3
	s_and_not1_saveexec_b32 s25, s25
; %bb.612:                              ;   in Loop: Header=BB0_130 Depth=3
	v_cmp_lt_i64_e64 s9, -1, v[16:17]
	s_delay_alu instid0(VALU_DEP_1) | instskip(SKIP_1) | instid1(VALU_DEP_1)
	v_cndmask_b32_e64 v2, 0xff800000, v21, s9
	v_cmp_eq_u32_e64 s9, 0, v18
	v_cndmask_b32_e64 v19, 0x7f800001, v2, s9
; %bb.613:                              ;   in Loop: Header=BB0_130 Depth=3
	s_or_b32 exec_lo, exec_lo, s25
.LBB0_614:                              ;   in Loop: Header=BB0_130 Depth=3
	s_delay_alu instid0(SALU_CYCLE_1)
	s_or_b32 exec_lo, exec_lo, s24
.LBB0_615:                              ;   in Loop: Header=BB0_130 Depth=3
	s_delay_alu instid0(SALU_CYCLE_1) | instskip(NEXT) | instid1(VALU_DEP_1)
	s_or_b32 exec_lo, exec_lo, s23
	v_dual_max_num_f32 v2, v19, v19 :: v_dual_max_num_f32 v4, v5, v5
                                        ; implicit-def: $vgpr30
                                        ; implicit-def: $vgpr16_vgpr17
                                        ; implicit-def: $vgpr44_vgpr45
                                        ; implicit-def: $vgpr18_vgpr19
	s_delay_alu instid0(VALU_DEP_1)
	v_max_num_f32_e32 v78, v4, v2
                                        ; implicit-def: $vgpr4_vgpr5
                                        ; implicit-def: $vgpr2
.LBB0_616:                              ;   in Loop: Header=BB0_130 Depth=3
	s_and_not1_saveexec_b32 s9, s22
	s_cbranch_execz .LBB0_638
; %bb.617:                              ;   in Loop: Header=BB0_130 Depth=3
	v_dual_mov_b32 v19, 0 :: v_dual_mov_b32 v5, 0
	s_and_saveexec_b32 s22, vcc_lo
	s_cbranch_execz .LBB0_627
; %bb.618:                              ;   in Loop: Header=BB0_130 Depth=3
	v_bfrev_b32_e32 v5, 1
	s_mov_b32 s23, exec_lo
	v_cmpx_ne_u32_e32 0x80, v30
	s_cbranch_execz .LBB0_626
; %bb.619:                              ;   in Loop: Header=BB0_130 Depth=3
	v_and_b32_e32 v5, 0x7c000000, v18
	v_bfe_u32 v78, v18, 24, 2
	s_delay_alu instid0(VALU_DEP_2) | instskip(SKIP_1) | instid1(SALU_CYCLE_1)
	v_cmp_ne_u32_e32 vcc_lo, 0x7c000000, v5
                                        ; implicit-def: $vgpr5
	s_and_saveexec_b32 s24, vcc_lo
	s_xor_b32 s24, exec_lo, s24
	s_cbranch_execz .LBB0_623
; %bb.620:                              ;   in Loop: Header=BB0_130 Depth=3
	v_bfe_u32 v5, v18, 26, 5
	s_mov_b32 s25, exec_lo
	s_delay_alu instid0(VALU_DEP_1)
	v_cmpx_eq_u32_e32 0, v5
; %bb.621:                              ;   in Loop: Header=BB0_130 Depth=3
	v_clz_i32_u32_e32 v5, v78
	s_delay_alu instid0(VALU_DEP_1) | instskip(NEXT) | instid1(VALU_DEP_1)
	v_min_u32_e32 v5, 32, v5
	v_subrev_nc_u32_e32 v44, 29, v5
	s_delay_alu instid0(VALU_DEP_1) | instskip(NEXT) | instid1(VALU_DEP_1)
	v_lshlrev_b64_e32 v[44:45], v44, v[30:31]
	v_dual_sub_nc_u32 v5, 30, v5 :: v_dual_bitop2_b32 v78, 3, v44 bitop3:0x40
; %bb.622:                              ;   in Loop: Header=BB0_130 Depth=3
	s_or_b32 exec_lo, exec_lo, s25
	v_and_b32_e32 v18, 0x80000000, v18
                                        ; implicit-def: $vgpr44_vgpr45
	s_delay_alu instid0(VALU_DEP_1) | instskip(NEXT) | instid1(VALU_DEP_1)
	v_lshl_add_u32 v5, v5, 23, v18
	v_lshl_or_b32 v5, v78, 21, v5
                                        ; implicit-def: $vgpr78
	s_delay_alu instid0(VALU_DEP_1)
	v_add_nc_u32_e32 v5, 0x38000000, v5
.LBB0_623:                              ;   in Loop: Header=BB0_130 Depth=3
	s_and_not1_saveexec_b32 s24, s24
; %bb.624:                              ;   in Loop: Header=BB0_130 Depth=3
	v_cmp_lt_i64_e32 vcc_lo, -1, v[44:45]
	v_cndmask_b32_e32 v5, 0xff800000, v21, vcc_lo
	v_cmp_eq_u32_e32 vcc_lo, 0, v78
	s_delay_alu instid0(VALU_DEP_2)
	v_cndmask_b32_e32 v5, 0x7f800001, v5, vcc_lo
; %bb.625:                              ;   in Loop: Header=BB0_130 Depth=3
	s_or_b32 exec_lo, exec_lo, s24
.LBB0_626:                              ;   in Loop: Header=BB0_130 Depth=3
	s_delay_alu instid0(SALU_CYCLE_1)
	s_or_b32 exec_lo, exec_lo, s23
.LBB0_627:                              ;   in Loop: Header=BB0_130 Depth=3
	s_delay_alu instid0(SALU_CYCLE_1) | instskip(NEXT) | instid1(SALU_CYCLE_1)
	s_or_b32 exec_lo, exec_lo, s22
	s_mov_b32 s22, exec_lo
	v_cmpx_lt_u32_e32 0xffffff, v4
	s_cbranch_execz .LBB0_637
; %bb.628:                              ;   in Loop: Header=BB0_130 Depth=3
	v_bfrev_b32_e32 v19, 1
	s_mov_b32 s23, exec_lo
	v_cmpx_ne_u32_e32 0x80, v2
	s_cbranch_execz .LBB0_636
; %bb.629:                              ;   in Loop: Header=BB0_130 Depth=3
	v_and_b32_e32 v19, 0x7c000000, v4
	v_bfe_u32 v18, v4, 24, 2
	s_delay_alu instid0(VALU_DEP_2) | instskip(SKIP_1) | instid1(SALU_CYCLE_1)
	v_cmp_ne_u32_e32 vcc_lo, 0x7c000000, v19
                                        ; implicit-def: $vgpr19
	s_and_saveexec_b32 s24, vcc_lo
	s_xor_b32 s24, exec_lo, s24
	s_cbranch_execz .LBB0_633
; %bb.630:                              ;   in Loop: Header=BB0_130 Depth=3
	v_bfe_u32 v16, v4, 26, 5
	s_mov_b32 s25, exec_lo
	s_delay_alu instid0(VALU_DEP_1)
	v_cmpx_eq_u32_e32 0, v16
; %bb.631:                              ;   in Loop: Header=BB0_130 Depth=3
	v_clz_i32_u32_e32 v16, v18
	s_delay_alu instid0(VALU_DEP_1) | instskip(NEXT) | instid1(VALU_DEP_1)
	v_min_u32_e32 v16, 32, v16
	v_subrev_nc_u32_e32 v17, 29, v16
	s_delay_alu instid0(VALU_DEP_1) | instskip(NEXT) | instid1(VALU_DEP_1)
	v_lshlrev_b64_e32 v[18:19], v17, v[2:3]
	v_dual_sub_nc_u32 v16, 30, v16 :: v_dual_bitop2_b32 v18, 3, v18 bitop3:0x40
; %bb.632:                              ;   in Loop: Header=BB0_130 Depth=3
	s_or_b32 exec_lo, exec_lo, s25
	v_and_b32_e32 v2, 0x80000000, v4
	s_delay_alu instid0(VALU_DEP_1) | instskip(NEXT) | instid1(VALU_DEP_1)
	v_lshl_add_u32 v2, v16, 23, v2
                                        ; implicit-def: $vgpr16_vgpr17
	v_lshl_or_b32 v2, v18, 21, v2
                                        ; implicit-def: $vgpr18
	s_delay_alu instid0(VALU_DEP_1)
	v_add_nc_u32_e32 v19, 0x38000000, v2
.LBB0_633:                              ;   in Loop: Header=BB0_130 Depth=3
	s_and_not1_saveexec_b32 s24, s24
; %bb.634:                              ;   in Loop: Header=BB0_130 Depth=3
	v_cmp_lt_i64_e32 vcc_lo, -1, v[16:17]
	v_cndmask_b32_e32 v2, 0xff800000, v21, vcc_lo
	v_cmp_eq_u32_e32 vcc_lo, 0, v18
	s_delay_alu instid0(VALU_DEP_2)
	v_cndmask_b32_e32 v19, 0x7f800001, v2, vcc_lo
; %bb.635:                              ;   in Loop: Header=BB0_130 Depth=3
	s_or_b32 exec_lo, exec_lo, s24
.LBB0_636:                              ;   in Loop: Header=BB0_130 Depth=3
	s_delay_alu instid0(SALU_CYCLE_1)
	s_or_b32 exec_lo, exec_lo, s23
.LBB0_637:                              ;   in Loop: Header=BB0_130 Depth=3
	s_delay_alu instid0(SALU_CYCLE_1) | instskip(NEXT) | instid1(VALU_DEP_1)
	s_or_b32 exec_lo, exec_lo, s22
	v_dual_max_num_f32 v2, v19, v19 :: v_dual_max_num_f32 v4, v5, v5
	s_delay_alu instid0(VALU_DEP_1)
	v_min_num_f32_e32 v78, v4, v2
.LBB0_638:                              ;   in Loop: Header=BB0_130 Depth=3
	s_or_b32 exec_lo, exec_lo, s9
	s_delay_alu instid0(VALU_DEP_1) | instskip(SKIP_3) | instid1(VALU_DEP_3)
	v_and_b32_e32 v16, 0x7f800000, v78
	v_dual_mov_b32 v17, v55 :: v_dual_mov_b32 v5, v55
	v_and_b32_e32 v4, 0x7fffff, v78
	v_lshrrev_b32_e32 v2, 24, v78
	v_cmp_ne_u64_e32 vcc_lo, 0x7f800000, v[16:17]
                                        ; implicit-def: $vgpr16
	s_and_saveexec_b32 s9, vcc_lo
	s_delay_alu instid0(SALU_CYCLE_1)
	s_xor_b32 s22, exec_lo, s9
	s_cbranch_execz .LBB0_652
; %bb.639:                              ;   in Loop: Header=BB0_130 Depth=3
	v_and_b32_e32 v16, 0x7fffffff, v78
	v_mov_b32_e32 v17, v55
	v_and_b32_e32 v2, 0x80, v2
	s_delay_alu instid0(VALU_DEP_2) | instskip(SKIP_1) | instid1(SALU_CYCLE_1)
	v_cmp_gt_u64_e32 vcc_lo, 0x47600001, v[16:17]
                                        ; implicit-def: $vgpr16
	s_and_saveexec_b32 s9, vcc_lo
	s_xor_b32 s23, exec_lo, s9
	s_cbranch_execz .LBB0_649
; %bb.640:                              ;   in Loop: Header=BB0_130 Depth=3
	v_mov_b32_e32 v16, 0
	s_mov_b32 s24, exec_lo
	v_cmpx_ne_u32_e32 0, v78
	s_cbranch_execz .LBB0_648
; %bb.641:                              ;   in Loop: Header=BB0_130 Depth=3
	v_bfe_u32 v18, v78, 23, 8
	v_or_b32_e32 v30, 0x800000, v4
	s_delay_alu instid0(VALU_DEP_2) | instskip(SKIP_1) | instid1(VALU_DEP_2)
	v_sub_nc_u32_e32 v16, 0x71, v18
	v_cmp_gt_u32_e32 vcc_lo, 0x72, v18
	v_cndmask_b32_e32 v16, 0, v16, vcc_lo
	v_cmp_eq_u32_e32 vcc_lo, 0, v18
	s_delay_alu instid0(VALU_DEP_2) | instskip(NEXT) | instid1(VALU_DEP_1)
	v_cndmask_b32_e64 v19, v16, 0x70, vcc_lo
	v_dual_cndmask_b32 v4, v30, v4, vcc_lo :: v_dual_add_nc_u32 v16, 21, v19
	v_add_nc_u32_e32 v44, 20, v19
	s_delay_alu instid0(VALU_DEP_2) | instskip(NEXT) | instid1(VALU_DEP_2)
	v_lshlrev_b64_e64 v[16:17], v16, -1
	v_lshlrev_b64_e64 v[44:45], v44, 1
	s_delay_alu instid0(VALU_DEP_2) | instskip(SKIP_1) | instid1(VALU_DEP_4)
	v_bfi_b32 v16, v16, 0, v4
	v_lshrrev_b64 v[4:5], v19, v[4:5]
	v_bfi_b32 v17, v17, 0, 0
	s_delay_alu instid0(VALU_DEP_1) | instskip(NEXT) | instid1(VALU_DEP_3)
	v_cmp_eq_u64_e64 s9, v[16:17], v[44:45]
	v_mov_b64_e32 v[16:17], v[4:5]
	s_and_saveexec_b32 s25, s9
; %bb.642:                              ;   in Loop: Header=BB0_130 Depth=3
	v_bfe_u32 v16, v4, 21, 1
	v_mov_b32_e32 v17, v55
	s_delay_alu instid0(VALU_DEP_1) | instskip(NEXT) | instid1(VALU_DEP_1)
	v_add_nc_u64_e32 v[16:17], v[4:5], v[16:17]
	v_add_nc_u64_e32 v[16:17], -1, v[16:17]
; %bb.643:                              ;   in Loop: Header=BB0_130 Depth=3
	s_or_b32 exec_lo, exec_lo, s25
	v_add_nc_u32_e32 v5, 0xffffff81, v18
	v_lshrrev_b32_e32 v17, 23, v4
	s_mov_b32 s9, exec_lo
	s_delay_alu instid0(VALU_DEP_2) | instskip(NEXT) | instid1(VALU_DEP_1)
	v_cndmask_b32_e64 v5, v5, 0xffffff82, vcc_lo
	v_add3_u32 v17, v19, v5, v17
	v_and_b32_e32 v5, 0x1fffff, v16
                                        ; implicit-def: $vgpr16
	s_delay_alu instid0(VALU_DEP_1) | instskip(SKIP_1) | instid1(VALU_DEP_2)
	v_dual_add_nc_u32 v18, 14, v17 :: v_dual_add_nc_u32 v4, v5, v4
	v_mov_b32_e32 v5, v55
	v_cmpx_ne_u32_e32 0, v18
	s_xor_b32 s9, exec_lo, s9
; %bb.644:                              ;   in Loop: Header=BB0_130 Depth=3
	s_delay_alu instid0(VALU_DEP_2) | instskip(SKIP_2) | instid1(VALU_DEP_2)
	v_cmp_lt_u64_e32 vcc_lo, 0xffffff, v[4:5]
	v_add_nc_u32_e32 v16, 15, v17
	v_cndmask_b32_e64 v17, 0, 1, vcc_lo
	v_cndmask_b32_e32 v16, v18, v16, vcc_lo
	s_delay_alu instid0(VALU_DEP_2)
	v_lshrrev_b64 v[4:5], v17, v[4:5]
; %bb.645:                              ;   in Loop: Header=BB0_130 Depth=3
	s_and_not1_saveexec_b32 s9, s9
; %bb.646:                              ;   in Loop: Header=BB0_130 Depth=3
	s_delay_alu instid0(VALU_DEP_1)
	v_bfe_u32 v16, v4, 23, 1
; %bb.647:                              ;   in Loop: Header=BB0_130 Depth=3
	s_or_b32 exec_lo, exec_lo, s9
	s_delay_alu instid0(VALU_DEP_2) | instskip(NEXT) | instid1(VALU_DEP_2)
	v_lshrrev_b64 v[4:5], 21, v[4:5]
	v_cmp_gt_i32_e32 vcc_lo, 32, v16
	v_min_i32_e32 v17, 31, v16
	v_cmp_eq_u32_e64 s9, 0, v16
	s_delay_alu instid0(VALU_DEP_4) | instskip(NEXT) | instid1(VALU_DEP_3)
	v_cndmask_b32_e32 v5, 0, v5, vcc_lo
	v_dual_cndmask_b32 v4, 3, v4 :: v_dual_lshlrev_b32 v17, 2, v17
	s_delay_alu instid0(VALU_DEP_1) | instskip(NEXT) | instid1(VALU_DEP_2)
	v_and_b32_e32 v17, 0xfc, v17
	v_cmp_eq_u64_e32 vcc_lo, 0, v[4:5]
	s_delay_alu instid0(VALU_DEP_2)
	v_and_or_b32 v4, v4, 3, v17
	s_and_b32 s9, s9, vcc_lo
	s_delay_alu instid0(VALU_DEP_1) | instid1(SALU_CYCLE_1)
	v_cndmask_b32_e64 v4, v4, 0, s9
	s_delay_alu instid0(VALU_DEP_1)
	v_or_b32_e32 v16, v4, v2
.LBB0_648:                              ;   in Loop: Header=BB0_130 Depth=3
	s_or_b32 exec_lo, exec_lo, s24
                                        ; implicit-def: $vgpr2
.LBB0_649:                              ;   in Loop: Header=BB0_130 Depth=3
	s_and_not1_saveexec_b32 s9, s23
; %bb.650:                              ;   in Loop: Header=BB0_130 Depth=3
	v_or_b32_e32 v16, 0x7b, v2
; %bb.651:                              ;   in Loop: Header=BB0_130 Depth=3
	s_or_b32 exec_lo, exec_lo, s9
                                        ; implicit-def: $vgpr78
                                        ; implicit-def: $vgpr4_vgpr5
                                        ; implicit-def: $vgpr2
.LBB0_652:                              ;   in Loop: Header=BB0_130 Depth=3
	s_and_not1_saveexec_b32 s9, s22
	s_cbranch_execz .LBB0_129
; %bb.653:                              ;   in Loop: Header=BB0_130 Depth=3
	s_mov_b32 s22, exec_lo
                                        ; implicit-def: $vgpr16
	v_cmpx_ne_u64_e32 0, v[4:5]
	s_xor_b32 s22, exec_lo, s22
; %bb.654:                              ;   in Loop: Header=BB0_130 Depth=3
	v_or_b32_e32 v16, 0x7f, v2
                                        ; implicit-def: $vgpr78
; %bb.655:                              ;   in Loop: Header=BB0_130 Depth=3
	s_and_not1_saveexec_b32 s22, s22
	s_cbranch_execz .LBB0_128
; %bb.656:                              ;   in Loop: Header=BB0_130 Depth=3
	v_cmp_lt_i32_e32 vcc_lo, -1, v78
	v_cndmask_b32_e32 v16, 0xfc, v58, vcc_lo
	s_branch .LBB0_128
.LBB0_657:                              ;   in Loop: Header=BB0_85 Depth=2
	s_or_b32 exec_lo, exec_lo, s21
	s_delay_alu instid0(SALU_CYCLE_1)
	s_or_b32 exec_lo, exec_lo, s20
	s_and_saveexec_b32 s9, s3
	s_cbranch_execz .LBB0_122
.LBB0_658:                              ;   in Loop: Header=BB0_85 Depth=2
	s_and_saveexec_b32 s20, s4
	s_delay_alu instid0(SALU_CYCLE_1)
	s_xor_b32 s20, exec_lo, s20
	s_cbranch_execz .LBB0_673
; %bb.659:                              ;   in Loop: Header=BB0_85 Depth=2
	s_and_saveexec_b32 s21, s5
	s_cbranch_execz .LBB0_672
; %bb.660:                              ;   in Loop: Header=BB0_85 Depth=2
	s_mov_b32 s23, exec_lo
	s_mov_b32 s22, exec_lo
	v_mbcnt_lo_u32_b32 v2, s23, 0
	global_wb scope:SCOPE_DEV
	s_wait_storecnt 0x0
	s_wait_loadcnt_dscnt 0x0
	global_inv scope:SCOPE_DEV
	v_cmpx_eq_u32_e32 0, v2
	s_cbranch_execz .LBB0_662
; %bb.661:                              ;   in Loop: Header=BB0_85 Depth=2
	s_bcnt1_i32_b32 s23, s23
	s_delay_alu instid0(SALU_CYCLE_1)
	v_dual_mov_b32 v5, v55 :: v_dual_mov_b32 v4, s23
	s_wait_loadcnt 0x0
	ds_add_u64 v0, v[4:5]
	s_trap 2
.LBB0_662:                              ;   in Loop: Header=BB0_85 Depth=2
	s_or_b32 exec_lo, exec_lo, s22
	s_trap 2
	ds_load_b64 v[4:5], v0
	s_wait_dscnt 0x0
	v_add_nc_u64_e32 v[52:53], v[52:53], v[82:83]
	s_mov_b32 s22, exec_lo
	s_delay_alu instid0(VALU_DEP_1)
	v_cmpx_lt_u64_e64 v[4:5], v[52:53]
	s_cbranch_execz .LBB0_671
; %bb.663:                              ;   in Loop: Header=BB0_85 Depth=2
	s_mov_b32 s23, 0
	s_mov_b32 s26, 0
                                        ; implicit-def: $sgpr24
                                        ; implicit-def: $sgpr25
	s_branch .LBB0_665
.LBB0_664:                              ;   in Loop: Header=BB0_665 Depth=3
	s_or_b32 exec_lo, exec_lo, s28
	s_delay_alu instid0(SALU_CYCLE_1) | instskip(NEXT) | instid1(SALU_CYCLE_1)
	s_and_b32 s27, exec_lo, s29
	s_or_b32 s23, s27, s23
	s_and_not1_b32 s24, s24, exec_lo
	s_and_b32 s27, s25, exec_lo
	s_delay_alu instid0(SALU_CYCLE_1)
	s_or_b32 s24, s24, s27
	s_and_not1_b32 exec_lo, exec_lo, s23
	s_cbranch_execz .LBB0_669
.LBB0_665:                              ;   Parent Loop BB0_36 Depth=1
                                        ;     Parent Loop BB0_85 Depth=2
                                        ; =>    This Inner Loop Header: Depth=3
	s_add_co_i32 s26, s26, 1
	s_delay_alu instid0(SALU_CYCLE_1) | instskip(SKIP_1) | instid1(SALU_CYCLE_1)
	s_cmp_lg_u32 s26, 0x2710
	s_cselect_b32 s27, -1, 0
	s_and_b32 vcc_lo, exec_lo, s27
	s_cbranch_vccz .LBB0_667
; %bb.666:                              ;   in Loop: Header=BB0_665 Depth=3
	s_mov_b32 s29, -1
	s_or_b32 s25, s25, exec_lo
	s_and_saveexec_b32 s28, s27
	s_cbranch_execz .LBB0_664
	s_branch .LBB0_668
.LBB0_667:                              ;   in Loop: Header=BB0_665 Depth=3
	s_trap 2
	ds_load_b64 v[4:5], v0
	s_and_not1_b32 s27, s27, exec_lo
	s_mov_b32 s26, 0
	s_wait_loadcnt_dscnt 0x0
	flat_load_b32 v2, v[4:5] scope:SCOPE_SYS
	s_wait_loadcnt_dscnt 0x0
	global_inv scope:SCOPE_SYS
	v_cmp_eq_u32_e32 vcc_lo, 0, v2
	s_and_b32 s28, vcc_lo, exec_lo
	s_delay_alu instid0(SALU_CYCLE_1)
	s_or_b32 s27, s27, s28
	s_mov_b32 s29, -1
	s_or_b32 s25, s25, exec_lo
	s_and_saveexec_b32 s28, s27
	s_cbranch_execz .LBB0_664
.LBB0_668:                              ;   in Loop: Header=BB0_665 Depth=3
	s_sleep 1
	s_trap 2
	ds_load_b64 v[4:5], v0
	s_wait_dscnt 0x0
	s_and_not1_b32 s25, s25, exec_lo
	v_cmp_ge_u64_e32 vcc_lo, v[4:5], v[52:53]
	s_or_not1_b32 s29, vcc_lo, exec_lo
	s_branch .LBB0_664
.LBB0_669:                              ;   in Loop: Header=BB0_85 Depth=2
	s_or_b32 exec_lo, exec_lo, s23
	s_and_saveexec_b32 s23, s24
	s_delay_alu instid0(SALU_CYCLE_1)
	s_xor_b32 s23, exec_lo, s23
	s_cbranch_execz .LBB0_671
; %bb.670:                              ;   in Loop: Header=BB0_85 Depth=2
	ds_store_b32 v0, v1
	s_trap 2
.LBB0_671:                              ;   in Loop: Header=BB0_85 Depth=2
	s_or_b32 exec_lo, exec_lo, s22
	;;#ASMSTART
	s_wakeup
	;;#ASMEND
.LBB0_672:                              ;   in Loop: Header=BB0_85 Depth=2
	s_or_b32 exec_lo, exec_lo, s21
.LBB0_673:                              ;   in Loop: Header=BB0_85 Depth=2
	s_and_not1_saveexec_b32 s20, s20
	s_cbranch_execz .LBB0_675
; %bb.674:                              ;   in Loop: Header=BB0_85 Depth=2
	global_wb scope:SCOPE_DEV
	s_wait_storecnt 0x0
	s_wait_loadcnt_dscnt 0x0
	global_inv scope:SCOPE_DEV
	s_barrier_signal -1
	s_barrier_wait -1
.LBB0_675:                              ;   in Loop: Header=BB0_85 Depth=2
	s_or_b32 exec_lo, exec_lo, s20
	s_delay_alu instid0(SALU_CYCLE_1)
	s_or_b32 exec_lo, exec_lo, s9
	s_and_saveexec_b32 s9, s7
	s_cbranch_execnz .LBB0_123
	s_branch .LBB0_124
.LBB0_676:                              ;   in Loop: Header=BB0_36 Depth=1
	s_delay_alu instid0(VALU_DEP_1)
	v_mov_b64_e32 v[16:17], v[114:115]
	s_and_saveexec_b32 s9, s8
	s_cbranch_execnz .LBB0_679
; %bb.677:                              ;   in Loop: Header=BB0_36 Depth=1
	s_or_b32 exec_lo, exec_lo, s9
	s_and_saveexec_b32 s8, s3
	s_cbranch_execnz .LBB0_1228
.LBB0_678:                              ;   in Loop: Header=BB0_36 Depth=1
	s_or_b32 exec_lo, exec_lo, s8
	s_and_saveexec_b32 s8, s7
	s_cbranch_execz .LBB0_35
	s_branch .LBB0_1246
.LBB0_679:                              ;   in Loop: Header=BB0_36 Depth=1
	flat_load_b32 v4, v[22:23]
	v_add_nc_u64_e32 v[2:3], v[10:11], v[112:113]
	v_dual_mov_b32 v116, v0 :: v_dual_bitop2_b32 v5, 7, v34 bitop3:0x40
	s_mov_b32 s19, 0
	v_add_nc_u32_e32 v42, 1, v34
	s_wait_loadcnt_dscnt 0x0
	s_delay_alu instid0(VALU_DEP_3) | instskip(SKIP_1) | instid1(VALU_DEP_2)
	v_mad_nc_u64_u32 v[2:3], v68, v4, v[2:3]
	v_ashrrev_i32_e32 v18, 31, v4
	v_mad_u32 v3, v69, v4, v3
	v_mul_lo_u32 v4, v5, s16
	s_delay_alu instid0(VALU_DEP_2) | instskip(NEXT) | instid1(VALU_DEP_2)
	v_mad_u32 v3, v68, v18, v3
	v_ashrrev_i32_e32 v5, 31, v4
	v_add_nc_u64_e32 v[18:19], v[8:9], v[112:113]
	s_delay_alu instid0(VALU_DEP_2) | instskip(NEXT) | instid1(VALU_DEP_4)
	v_lshl_add_u64 v[114:115], v[4:5], 4, v[32:33]
	v_add_nc_u64_e32 v[112:113], v[2:3], v[84:85]
	s_branch .LBB0_681
.LBB0_680:                              ;   in Loop: Header=BB0_681 Depth=2
	v_sub_nc_u32_e32 v60, v60, v86
	v_add_nc_u64_e32 v[112:113], v[112:113], v[86:87]
	s_wait_xcnt 0x0
	v_add_nc_u64_e32 v[18:19], v[18:19], v[86:87]
	v_add_nc_u32_e32 v116, v116, v20
	v_cmp_gt_i32_e32 vcc_lo, 1, v60
	s_or_b32 s19, vcc_lo, s19
	s_delay_alu instid0(SALU_CYCLE_1)
	s_and_not1_b32 exec_lo, exec_lo, s19
	s_cbranch_execz .LBB0_1227
.LBB0_681:                              ;   Parent Loop BB0_36 Depth=1
                                        ; =>  This Loop Header: Depth=2
                                        ;       Child Loop BB0_689 Depth 3
	s_delay_alu instid0(VALU_DEP_1)
	v_dual_mov_b32 v3, v113 :: v_dual_bitop2_b32 v2, -4, v112 bitop3:0x40
	v_min_u32_e32 v4, 8, v60
	v_dual_mov_b32 v45, 0 :: v_dual_bitop2_b32 v5, 3, v112 bitop3:0x40
	v_mov_b32_e32 v46, 0
	global_load_b32 v30, v[2:3], off th:TH_LOAD_NT
	s_mov_b32 s8, exec_lo
	v_add_nc_u32_e32 v54, v5, v4
	s_wait_xcnt 0x0
	s_delay_alu instid0(VALU_DEP_1)
	v_cmpx_lt_u32_e32 4, v54
	s_cbranch_execz .LBB0_683
; %bb.682:                              ;   in Loop: Header=BB0_681 Depth=2
	global_load_b32 v46, v[2:3], off offset:4 th:TH_LOAD_NT
.LBB0_683:                              ;   in Loop: Header=BB0_681 Depth=2
	s_wait_xcnt 0x0
	s_or_b32 exec_lo, exec_lo, s8
	s_delay_alu instid0(SALU_CYCLE_1)
	s_mov_b32 s8, exec_lo
	v_cmpx_lt_u64_e32 8, v[54:55]
	s_cbranch_execz .LBB0_685
; %bb.684:                              ;   in Loop: Header=BB0_681 Depth=2
	global_load_b32 v45, v[2:3], off offset:8 th:TH_LOAD_NT
.LBB0_685:                              ;   in Loop: Header=BB0_681 Depth=2
	s_wait_xcnt 0x0
	s_or_b32 exec_lo, exec_lo, s8
	v_mov_b32_e32 v117, v55
	v_cmp_eq_u32_e32 vcc_lo, 0, v59
	v_mov_b32_e32 v59, 1
	s_delay_alu instid0(VALU_DEP_3)
	v_lshl_add_u64 v[118:119], v[116:117], 4, v[114:115]
	global_load_b128 v[2:5], v[118:119], off th:TH_LOAD_NT
	s_wait_xcnt 0x0
	s_and_saveexec_b32 s20, vcc_lo
	s_cbranch_execz .LBB0_697
; %bb.686:                              ;   in Loop: Header=BB0_681 Depth=2
	s_wait_loadcnt 0x0
	v_cmp_ne_u32_e32 vcc_lo, v42, v3
	v_cmp_ne_u32_e64 s8, v42, v5
	v_mov_b32_e32 v59, 0
	s_or_b32 s8, vcc_lo, s8
	s_delay_alu instid0(SALU_CYCLE_1)
	s_and_saveexec_b32 s21, s8
	s_cbranch_execz .LBB0_696
; %bb.687:                              ;   in Loop: Header=BB0_681 Depth=2
	s_mov_b32 s25, 1
	s_mov_b32 s23, 0
                                        ; implicit-def: $sgpr22
                                        ; implicit-def: $sgpr24
	s_branch .LBB0_689
.LBB0_688:                              ;   in Loop: Header=BB0_689 Depth=3
	s_or_b32 exec_lo, exec_lo, s27
	s_delay_alu instid0(SALU_CYCLE_1) | instskip(NEXT) | instid1(SALU_CYCLE_1)
	s_and_b32 s8, exec_lo, s8
	s_or_b32 s23, s8, s23
	s_and_not1_b32 s8, s22, exec_lo
	s_and_b32 s22, s24, exec_lo
	s_delay_alu instid0(SALU_CYCLE_1)
	s_or_b32 s22, s8, s22
	s_and_not1_b32 exec_lo, exec_lo, s23
	s_cbranch_execz .LBB0_693
.LBB0_689:                              ;   Parent Loop BB0_36 Depth=1
                                        ;     Parent Loop BB0_681 Depth=2
                                        ; =>    This Inner Loop Header: Depth=3
	s_wait_loadcnt 0x0
	global_load_b128 v[2:5], v[118:119], off th:TH_LOAD_NT
	s_add_co_i32 s25, s25, 1
	s_mov_b32 s8, -1
	s_cmp_lg_u32 s25, 0x2710
	s_mov_b32 s26, -1
                                        ; implicit-def: $vgpr54
	s_cbranch_scc0 .LBB0_691
; %bb.690:                              ;   in Loop: Header=BB0_689 Depth=3
	s_or_b32 s24, s24, exec_lo
	s_wait_xcnt 0x0
	s_and_saveexec_b32 s27, s26
	s_cbranch_execz .LBB0_688
	s_branch .LBB0_692
.LBB0_691:                              ;   in Loop: Header=BB0_689 Depth=3
	s_trap 2
	ds_load_b64 v[40:41], v0
	s_mov_b32 s25, 0
	s_wait_storecnt 0x0
	s_wait_loadcnt_dscnt 0x0
	flat_load_b32 v54, v[40:41] scope:SCOPE_SYS
	s_wait_loadcnt_dscnt 0x0
	global_inv scope:SCOPE_SYS
	v_cmp_eq_u32_e32 vcc_lo, 0, v54
	s_or_not1_b32 s26, vcc_lo, exec_lo
	s_or_b32 s24, s24, exec_lo
	s_wait_xcnt 0x0
	s_and_saveexec_b32 s27, s26
	s_cbranch_execz .LBB0_688
.LBB0_692:                              ;   in Loop: Header=BB0_689 Depth=3
	s_wait_loadcnt 0x0
	v_cmp_eq_u32_e32 vcc_lo, v42, v3
	v_cmp_eq_u32_e64 s8, v42, v5
	s_and_not1_b32 s24, s24, exec_lo
	s_and_b32 s8, vcc_lo, s8
	s_delay_alu instid0(SALU_CYCLE_1)
	s_or_not1_b32 s8, s8, exec_lo
	s_branch .LBB0_688
.LBB0_693:                              ;   in Loop: Header=BB0_681 Depth=2
	s_or_b32 exec_lo, exec_lo, s23
	v_mov_b32_e32 v59, 0
	s_and_saveexec_b32 s8, s22
	s_delay_alu instid0(SALU_CYCLE_1)
	s_xor_b32 s8, exec_lo, s8
	s_cbranch_execz .LBB0_695
; %bb.694:                              ;   in Loop: Header=BB0_681 Depth=2
	v_mov_b32_e32 v59, 1
	s_wait_loadcnt 0x0
	s_wait_storecnt 0x0
	ds_store_b32 v0, v54
	s_trap 2
.LBB0_695:                              ;   in Loop: Header=BB0_681 Depth=2
	s_or_b32 exec_lo, exec_lo, s8
.LBB0_696:                              ;   in Loop: Header=BB0_681 Depth=2
	s_delay_alu instid0(SALU_CYCLE_1)
	s_or_b32 exec_lo, exec_lo, s21
.LBB0_697:                              ;   in Loop: Header=BB0_681 Depth=2
	s_delay_alu instid0(SALU_CYCLE_1) | instskip(SKIP_4) | instid1(VALU_DEP_3)
	s_or_b32 exec_lo, exec_lo, s20
	v_lshlrev_b32_e32 v61, 3, v112
	s_wait_loadcnt 0x0
	v_and_b32_e32 v117, 0xff, v2
	v_bfe_i32 v119, v2, 0, 8
                                        ; implicit-def: $vgpr40
	v_alignbit_b32 v54, v46, v30, v61
	s_delay_alu instid0(VALU_DEP_3) | instskip(NEXT) | instid1(VALU_DEP_2)
	v_cmp_ne_u16_e32 vcc_lo, 0, v117
	v_bfe_i32 v30, v54, 0, 8
	s_and_saveexec_b32 s8, s6
	s_delay_alu instid0(SALU_CYCLE_1)
	s_xor_b32 s20, exec_lo, s8
	s_cbranch_execz .LBB0_719
; %bb.698:                              ;   in Loop: Header=BB0_681 Depth=2
	v_dual_mov_b32 v118, 0 :: v_dual_mov_b32 v117, 0
	s_and_saveexec_b32 s21, vcc_lo
	s_cbranch_execz .LBB0_708
; %bb.699:                              ;   in Loop: Header=BB0_681 Depth=2
	v_bfrev_b32_e32 v117, 1
	s_mov_b32 s22, exec_lo
	v_cmpx_ne_u16_e32 0xff80, v119
	s_cbranch_execz .LBB0_707
; %bb.700:                              ;   in Loop: Header=BB0_681 Depth=2
	v_and_b32_e32 v117, 0x7c, v2
	v_and_b32_e32 v40, 3, v2
	s_delay_alu instid0(VALU_DEP_2) | instskip(SKIP_1) | instid1(SALU_CYCLE_1)
	v_cmp_ne_u32_e64 s8, 0x7c, v117
                                        ; implicit-def: $vgpr117
	s_and_saveexec_b32 s23, s8
	s_xor_b32 s23, exec_lo, s23
	s_cbranch_execz .LBB0_704
; %bb.701:                              ;   in Loop: Header=BB0_681 Depth=2
	v_bfe_u32 v117, v2, 2, 5
	s_mov_b32 s24, exec_lo
	s_delay_alu instid0(VALU_DEP_1)
	v_cmpx_eq_u32_e32 0, v117
; %bb.702:                              ;   in Loop: Header=BB0_681 Depth=2
	v_clz_i32_u32_e32 v117, v40
	s_delay_alu instid0(VALU_DEP_1) | instskip(NEXT) | instid1(VALU_DEP_1)
	v_min_u32_e32 v117, 32, v117
	v_subrev_nc_u32_e32 v119, 29, v117
	s_delay_alu instid0(VALU_DEP_1) | instskip(NEXT) | instid1(VALU_DEP_1)
	v_lshlrev_b64_e32 v[40:41], v119, v[2:3]
	v_dual_sub_nc_u32 v117, 30, v117 :: v_dual_bitop2_b32 v40, 3, v40 bitop3:0x40
; %bb.703:                              ;   in Loop: Header=BB0_681 Depth=2
	s_or_b32 exec_lo, exec_lo, s24
	v_lshlrev_b32_e32 v119, 24, v2
	s_delay_alu instid0(VALU_DEP_1) | instskip(NEXT) | instid1(VALU_DEP_1)
	v_and_b32_e32 v119, 0x80000000, v119
	v_lshl_add_u32 v117, v117, 23, v119
                                        ; implicit-def: $vgpr119
	s_delay_alu instid0(VALU_DEP_1) | instskip(NEXT) | instid1(VALU_DEP_1)
	v_lshl_or_b32 v117, v40, 21, v117
                                        ; implicit-def: $vgpr40
	v_add_nc_u32_e32 v117, 0x38000000, v117
.LBB0_704:                              ;   in Loop: Header=BB0_681 Depth=2
	s_and_not1_saveexec_b32 s23, s23
; %bb.705:                              ;   in Loop: Header=BB0_681 Depth=2
	v_cmp_lt_i16_e64 s8, -1, v119
	s_delay_alu instid0(VALU_DEP_1) | instskip(SKIP_1) | instid1(VALU_DEP_1)
	v_cndmask_b32_e64 v117, 0xff800000, v21, s8
	v_cmp_eq_u32_e64 s8, 0, v40
	v_cndmask_b32_e64 v117, 0x7f800001, v117, s8
; %bb.706:                              ;   in Loop: Header=BB0_681 Depth=2
	s_or_b32 exec_lo, exec_lo, s23
.LBB0_707:                              ;   in Loop: Header=BB0_681 Depth=2
	s_delay_alu instid0(SALU_CYCLE_1)
	s_or_b32 exec_lo, exec_lo, s22
.LBB0_708:                              ;   in Loop: Header=BB0_681 Depth=2
	s_delay_alu instid0(SALU_CYCLE_1) | instskip(NEXT) | instid1(SALU_CYCLE_1)
	s_or_b32 exec_lo, exec_lo, s21
	s_mov_b32 s21, exec_lo
	v_cmpx_ne_u16_e32 0, v30
	s_cbranch_execz .LBB0_718
; %bb.709:                              ;   in Loop: Header=BB0_681 Depth=2
	v_bfrev_b32_e32 v118, 1
	s_mov_b32 s22, exec_lo
	v_cmpx_ne_u16_e32 0xff80, v30
	s_cbranch_execz .LBB0_717
; %bb.710:                              ;   in Loop: Header=BB0_681 Depth=2
	v_and_b32_e32 v118, 0x7c, v54
	v_and_b32_e32 v119, 3, v54
	s_delay_alu instid0(VALU_DEP_2) | instskip(SKIP_1) | instid1(SALU_CYCLE_1)
	v_cmp_ne_u32_e64 s8, 0x7c, v118
                                        ; implicit-def: $vgpr118
	s_and_saveexec_b32 s23, s8
	s_xor_b32 s23, exec_lo, s23
	s_cbranch_execz .LBB0_714
; %bb.711:                              ;   in Loop: Header=BB0_681 Depth=2
	v_bfe_u32 v30, v54, 2, 5
	s_mov_b32 s24, exec_lo
	s_delay_alu instid0(VALU_DEP_1)
	v_cmpx_eq_u32_e32 0, v30
; %bb.712:                              ;   in Loop: Header=BB0_681 Depth=2
	v_clz_i32_u32_e32 v30, v119
	s_delay_alu instid0(VALU_DEP_1) | instskip(NEXT) | instid1(VALU_DEP_1)
	v_min_u32_e32 v30, 32, v30
	v_subrev_nc_u32_e32 v118, 29, v30
	v_sub_nc_u32_e32 v30, 30, v30
	s_delay_alu instid0(VALU_DEP_2) | instskip(NEXT) | instid1(VALU_DEP_1)
	v_lshlrev_b64_e32 v[118:119], v118, v[54:55]
	v_and_b32_e32 v119, 3, v118
; %bb.713:                              ;   in Loop: Header=BB0_681 Depth=2
	s_or_b32 exec_lo, exec_lo, s24
	v_lshlrev_b32_e32 v118, 24, v54
	s_delay_alu instid0(VALU_DEP_1) | instskip(NEXT) | instid1(VALU_DEP_1)
	v_and_b32_e32 v118, 0x80000000, v118
	v_lshl_add_u32 v30, v30, 23, v118
	s_delay_alu instid0(VALU_DEP_1) | instskip(NEXT) | instid1(VALU_DEP_1)
	v_lshl_or_b32 v30, v119, 21, v30
                                        ; implicit-def: $vgpr119
	v_add_nc_u32_e32 v118, 0x38000000, v30
                                        ; implicit-def: $vgpr30
.LBB0_714:                              ;   in Loop: Header=BB0_681 Depth=2
	s_and_not1_saveexec_b32 s23, s23
; %bb.715:                              ;   in Loop: Header=BB0_681 Depth=2
	v_cmp_lt_i16_e64 s8, -1, v30
	s_delay_alu instid0(VALU_DEP_1) | instskip(SKIP_1) | instid1(VALU_DEP_1)
	v_cndmask_b32_e64 v30, 0xff800000, v21, s8
	v_cmp_eq_u32_e64 s8, 0, v119
	v_cndmask_b32_e64 v118, 0x7f800001, v30, s8
; %bb.716:                              ;   in Loop: Header=BB0_681 Depth=2
	s_or_b32 exec_lo, exec_lo, s23
.LBB0_717:                              ;   in Loop: Header=BB0_681 Depth=2
	s_delay_alu instid0(SALU_CYCLE_1)
	s_or_b32 exec_lo, exec_lo, s22
.LBB0_718:                              ;   in Loop: Header=BB0_681 Depth=2
	s_delay_alu instid0(SALU_CYCLE_1) | instskip(NEXT) | instid1(VALU_DEP_1)
	s_or_b32 exec_lo, exec_lo, s21
	v_dual_max_num_f32 v30, v118, v118 :: v_dual_max_num_f32 v117, v117, v117
                                        ; implicit-def: $vgpr119
	s_delay_alu instid0(VALU_DEP_1)
	v_max_num_f32_e32 v40, v117, v30
                                        ; implicit-def: $vgpr30
.LBB0_719:                              ;   in Loop: Header=BB0_681 Depth=2
	s_and_not1_saveexec_b32 s8, s20
	s_cbranch_execz .LBB0_741
; %bb.720:                              ;   in Loop: Header=BB0_681 Depth=2
	v_dual_mov_b32 v118, 0 :: v_dual_mov_b32 v117, 0
	s_and_saveexec_b32 s20, vcc_lo
	s_cbranch_execz .LBB0_730
; %bb.721:                              ;   in Loop: Header=BB0_681 Depth=2
	v_bfrev_b32_e32 v117, 1
	s_mov_b32 s21, exec_lo
	v_cmpx_ne_u16_e32 0xff80, v119
	s_cbranch_execz .LBB0_729
; %bb.722:                              ;   in Loop: Header=BB0_681 Depth=2
	v_and_b32_e32 v117, 0x7c, v2
	v_and_b32_e32 v40, 3, v2
	s_delay_alu instid0(VALU_DEP_2) | instskip(SKIP_1) | instid1(SALU_CYCLE_1)
	v_cmp_ne_u32_e32 vcc_lo, 0x7c, v117
                                        ; implicit-def: $vgpr117
	s_and_saveexec_b32 s22, vcc_lo
	s_xor_b32 s22, exec_lo, s22
	s_cbranch_execz .LBB0_726
; %bb.723:                              ;   in Loop: Header=BB0_681 Depth=2
	v_bfe_u32 v117, v2, 2, 5
	s_mov_b32 s23, exec_lo
	s_delay_alu instid0(VALU_DEP_1)
	v_cmpx_eq_u32_e32 0, v117
; %bb.724:                              ;   in Loop: Header=BB0_681 Depth=2
	v_clz_i32_u32_e32 v117, v40
	s_delay_alu instid0(VALU_DEP_1) | instskip(NEXT) | instid1(VALU_DEP_1)
	v_min_u32_e32 v117, 32, v117
	v_subrev_nc_u32_e32 v119, 29, v117
	s_delay_alu instid0(VALU_DEP_1) | instskip(NEXT) | instid1(VALU_DEP_1)
	v_lshlrev_b64_e32 v[40:41], v119, v[2:3]
	v_dual_sub_nc_u32 v117, 30, v117 :: v_dual_bitop2_b32 v40, 3, v40 bitop3:0x40
; %bb.725:                              ;   in Loop: Header=BB0_681 Depth=2
	s_or_b32 exec_lo, exec_lo, s23
	v_lshlrev_b32_e32 v3, 24, v2
                                        ; implicit-def: $vgpr119
	s_delay_alu instid0(VALU_DEP_1) | instskip(NEXT) | instid1(VALU_DEP_1)
	v_and_b32_e32 v3, 0x80000000, v3
	v_lshl_add_u32 v3, v117, 23, v3
	s_delay_alu instid0(VALU_DEP_1) | instskip(NEXT) | instid1(VALU_DEP_1)
	v_lshl_or_b32 v3, v40, 21, v3
                                        ; implicit-def: $vgpr40
	v_add_nc_u32_e32 v117, 0x38000000, v3
.LBB0_726:                              ;   in Loop: Header=BB0_681 Depth=2
	s_and_not1_saveexec_b32 s22, s22
; %bb.727:                              ;   in Loop: Header=BB0_681 Depth=2
	v_cmp_lt_i16_e32 vcc_lo, -1, v119
	v_cndmask_b32_e32 v3, 0xff800000, v21, vcc_lo
	v_cmp_eq_u32_e32 vcc_lo, 0, v40
	s_delay_alu instid0(VALU_DEP_2)
	v_cndmask_b32_e32 v117, 0x7f800001, v3, vcc_lo
; %bb.728:                              ;   in Loop: Header=BB0_681 Depth=2
	s_or_b32 exec_lo, exec_lo, s22
.LBB0_729:                              ;   in Loop: Header=BB0_681 Depth=2
	s_delay_alu instid0(SALU_CYCLE_1)
	s_or_b32 exec_lo, exec_lo, s21
.LBB0_730:                              ;   in Loop: Header=BB0_681 Depth=2
	s_delay_alu instid0(SALU_CYCLE_1) | instskip(NEXT) | instid1(SALU_CYCLE_1)
	s_or_b32 exec_lo, exec_lo, s20
	s_mov_b32 s20, exec_lo
	v_cmpx_ne_u16_e32 0, v30
	s_cbranch_execz .LBB0_740
; %bb.731:                              ;   in Loop: Header=BB0_681 Depth=2
	v_bfrev_b32_e32 v118, 1
	s_mov_b32 s21, exec_lo
	v_cmpx_ne_u16_e32 0xff80, v30
	s_cbranch_execz .LBB0_739
; %bb.732:                              ;   in Loop: Header=BB0_681 Depth=2
	v_and_b32_e32 v118, 0x7c, v54
	v_and_b32_e32 v3, 3, v54
	s_delay_alu instid0(VALU_DEP_2) | instskip(SKIP_1) | instid1(SALU_CYCLE_1)
	v_cmp_ne_u32_e32 vcc_lo, 0x7c, v118
                                        ; implicit-def: $vgpr118
	s_and_saveexec_b32 s22, vcc_lo
	s_xor_b32 s22, exec_lo, s22
	s_cbranch_execz .LBB0_736
; %bb.733:                              ;   in Loop: Header=BB0_681 Depth=2
	v_bfe_u32 v30, v54, 2, 5
	s_mov_b32 s23, exec_lo
	s_delay_alu instid0(VALU_DEP_1)
	v_cmpx_eq_u32_e32 0, v30
; %bb.734:                              ;   in Loop: Header=BB0_681 Depth=2
	v_clz_i32_u32_e32 v3, v3
	s_delay_alu instid0(VALU_DEP_1) | instskip(NEXT) | instid1(VALU_DEP_1)
	v_min_u32_e32 v3, 32, v3
	v_subrev_nc_u32_e32 v30, 29, v3
	s_delay_alu instid0(VALU_DEP_1) | instskip(NEXT) | instid1(VALU_DEP_1)
	v_lshlrev_b64_e32 v[118:119], v30, v[54:55]
	v_dual_sub_nc_u32 v30, 30, v3 :: v_dual_bitop2_b32 v3, 3, v118 bitop3:0x40
; %bb.735:                              ;   in Loop: Header=BB0_681 Depth=2
	s_or_b32 exec_lo, exec_lo, s23
	v_lshlrev_b32_e32 v118, 24, v54
	s_delay_alu instid0(VALU_DEP_1) | instskip(NEXT) | instid1(VALU_DEP_1)
	v_and_b32_e32 v118, 0x80000000, v118
	v_lshl_add_u32 v30, v30, 23, v118
	s_delay_alu instid0(VALU_DEP_1) | instskip(NEXT) | instid1(VALU_DEP_1)
	v_lshl_or_b32 v3, v3, 21, v30
                                        ; implicit-def: $vgpr30
	v_add_nc_u32_e32 v118, 0x38000000, v3
                                        ; implicit-def: $vgpr3
.LBB0_736:                              ;   in Loop: Header=BB0_681 Depth=2
	s_and_not1_saveexec_b32 s22, s22
; %bb.737:                              ;   in Loop: Header=BB0_681 Depth=2
	v_cmp_lt_i16_e32 vcc_lo, -1, v30
	v_cndmask_b32_e32 v30, 0xff800000, v21, vcc_lo
	v_cmp_eq_u32_e32 vcc_lo, 0, v3
	s_delay_alu instid0(VALU_DEP_2)
	v_cndmask_b32_e32 v118, 0x7f800001, v30, vcc_lo
; %bb.738:                              ;   in Loop: Header=BB0_681 Depth=2
	s_or_b32 exec_lo, exec_lo, s22
.LBB0_739:                              ;   in Loop: Header=BB0_681 Depth=2
	s_delay_alu instid0(SALU_CYCLE_1)
	s_or_b32 exec_lo, exec_lo, s21
.LBB0_740:                              ;   in Loop: Header=BB0_681 Depth=2
	s_delay_alu instid0(SALU_CYCLE_1) | instskip(NEXT) | instid1(VALU_DEP_1)
	s_or_b32 exec_lo, exec_lo, s20
	v_dual_max_num_f32 v3, v118, v118 :: v_dual_max_num_f32 v30, v117, v117
	s_delay_alu instid0(VALU_DEP_1)
	v_min_num_f32_e32 v40, v30, v3
.LBB0_741:                              ;   in Loop: Header=BB0_681 Depth=2
	s_or_b32 exec_lo, exec_lo, s8
	s_delay_alu instid0(VALU_DEP_1) | instskip(SKIP_4) | instid1(VALU_DEP_3)
	v_and_b32_e32 v62, 0x7f800000, v40
	v_dual_mov_b32 v63, v55 :: v_dual_mov_b32 v119, v55
	v_and_b32_e32 v118, 0x7fffff, v40
	v_lshrrev_b32_e32 v3, 24, v40
                                        ; implicit-def: $vgpr117
	s_mov_b32 s8, exec_lo
	v_cmpx_ne_u64_e32 0x7f800000, v[62:63]
	s_xor_b32 s20, exec_lo, s8
	s_cbranch_execz .LBB0_755
; %bb.742:                              ;   in Loop: Header=BB0_681 Depth=2
	v_and_b32_e32 v62, 0x7fffffff, v40
	v_mov_b32_e32 v63, v55
	v_and_b32_e32 v3, 0x80, v3
                                        ; implicit-def: $vgpr117
	s_mov_b32 s8, exec_lo
	s_delay_alu instid0(VALU_DEP_2)
	v_cmpx_gt_u64_e32 0x47600001, v[62:63]
	s_xor_b32 s21, exec_lo, s8
	s_cbranch_execz .LBB0_752
; %bb.743:                              ;   in Loop: Header=BB0_681 Depth=2
	v_mov_b32_e32 v117, 0
	s_mov_b32 s22, exec_lo
	v_cmpx_ne_u32_e32 0, v40
	s_cbranch_execz .LBB0_751
; %bb.744:                              ;   in Loop: Header=BB0_681 Depth=2
	v_bfe_u32 v30, v40, 23, 8
	v_or_b32_e32 v43, 0x800000, v118
	s_delay_alu instid0(VALU_DEP_2) | instskip(SKIP_1) | instid1(VALU_DEP_2)
	v_sub_nc_u32_e32 v117, 0x71, v30
	v_cmp_gt_u32_e32 vcc_lo, 0x72, v30
	v_cndmask_b32_e32 v117, 0, v117, vcc_lo
	v_cmp_eq_u32_e32 vcc_lo, 0, v30
	v_cndmask_b32_e32 v118, v43, v118, vcc_lo
	s_delay_alu instid0(VALU_DEP_3) | instskip(NEXT) | instid1(VALU_DEP_1)
	v_cndmask_b32_e64 v117, v117, 0x70, vcc_lo
	v_dual_add_nc_u32 v40, 21, v117 :: v_dual_add_nc_u32 v44, 20, v117
	s_delay_alu instid0(VALU_DEP_1) | instskip(NEXT) | instid1(VALU_DEP_2)
	v_lshlrev_b64_e64 v[40:41], v40, -1
	v_lshlrev_b64_e64 v[62:63], v44, 1
	s_delay_alu instid0(VALU_DEP_2) | instskip(SKIP_1) | instid1(VALU_DEP_4)
	v_bfi_b32 v40, v40, 0, v118
	v_lshrrev_b64 v[118:119], v117, v[118:119]
	v_bfi_b32 v41, v41, 0, 0
	s_delay_alu instid0(VALU_DEP_1) | instskip(NEXT) | instid1(VALU_DEP_3)
	v_cmp_eq_u64_e64 s8, v[40:41], v[62:63]
	v_mov_b64_e32 v[40:41], v[118:119]
	s_and_saveexec_b32 s23, s8
; %bb.745:                              ;   in Loop: Header=BB0_681 Depth=2
	v_bfe_u32 v40, v118, 21, 1
	v_mov_b32_e32 v41, v55
	s_delay_alu instid0(VALU_DEP_1) | instskip(NEXT) | instid1(VALU_DEP_1)
	v_add_nc_u64_e32 v[40:41], v[118:119], v[40:41]
	v_add_nc_u64_e32 v[40:41], -1, v[40:41]
; %bb.746:                              ;   in Loop: Header=BB0_681 Depth=2
	s_or_b32 exec_lo, exec_lo, s23
	v_add_nc_u32_e32 v30, 0xffffff81, v30
	v_lshrrev_b32_e32 v119, 23, v118
	s_mov_b32 s8, exec_lo
	s_delay_alu instid0(VALU_DEP_2) | instskip(NEXT) | instid1(VALU_DEP_1)
	v_cndmask_b32_e64 v30, v30, 0xffffff82, vcc_lo
	v_add3_u32 v117, v117, v30, v119
	v_and_b32_e32 v30, 0x1fffff, v40
	s_delay_alu instid0(VALU_DEP_2) | instskip(NEXT) | instid1(VALU_DEP_2)
	v_dual_mov_b32 v119, v55 :: v_dual_add_nc_u32 v40, 14, v117
	v_add_nc_u32_e32 v118, v30, v118
                                        ; implicit-def: $vgpr30
	s_delay_alu instid0(VALU_DEP_2)
	v_cmpx_ne_u32_e32 0, v40
	s_xor_b32 s8, exec_lo, s8
; %bb.747:                              ;   in Loop: Header=BB0_681 Depth=2
	s_delay_alu instid0(VALU_DEP_2) | instskip(SKIP_2) | instid1(VALU_DEP_2)
	v_cmp_lt_u64_e32 vcc_lo, 0xffffff, v[118:119]
	v_add_nc_u32_e32 v30, 15, v117
	v_cndmask_b32_e64 v117, 0, 1, vcc_lo
	v_cndmask_b32_e32 v30, v40, v30, vcc_lo
	s_delay_alu instid0(VALU_DEP_2)
	v_lshrrev_b64 v[118:119], v117, v[118:119]
; %bb.748:                              ;   in Loop: Header=BB0_681 Depth=2
	s_and_not1_saveexec_b32 s8, s8
; %bb.749:                              ;   in Loop: Header=BB0_681 Depth=2
	s_delay_alu instid0(VALU_DEP_1)
	v_bfe_u32 v30, v118, 23, 1
; %bb.750:                              ;   in Loop: Header=BB0_681 Depth=2
	s_or_b32 exec_lo, exec_lo, s8
	s_delay_alu instid0(VALU_DEP_2) | instskip(NEXT) | instid1(VALU_DEP_2)
	v_lshrrev_b64 v[118:119], 21, v[118:119]
	v_cmp_gt_i32_e32 vcc_lo, 32, v30
	v_min_i32_e32 v117, 31, v30
	v_cmp_eq_u32_e64 s8, 0, v30
	s_delay_alu instid0(VALU_DEP_2) | instskip(SKIP_1) | instid1(VALU_DEP_2)
	v_dual_cndmask_b32 v119, 0, v119, vcc_lo :: v_dual_lshlrev_b32 v117, 2, v117
	v_cndmask_b32_e32 v118, 3, v118, vcc_lo
	v_and_b32_e32 v117, 0xfc, v117
	s_delay_alu instid0(VALU_DEP_2) | instskip(NEXT) | instid1(VALU_DEP_2)
	v_cmp_eq_u64_e32 vcc_lo, 0, v[118:119]
	v_and_or_b32 v30, v118, 3, v117
	s_and_b32 s8, s8, vcc_lo
	s_delay_alu instid0(VALU_DEP_1) | instid1(SALU_CYCLE_1)
	v_cndmask_b32_e64 v30, v30, 0, s8
	s_delay_alu instid0(VALU_DEP_1)
	v_or_b32_e32 v117, v30, v3
.LBB0_751:                              ;   in Loop: Header=BB0_681 Depth=2
	s_or_b32 exec_lo, exec_lo, s22
                                        ; implicit-def: $vgpr3
.LBB0_752:                              ;   in Loop: Header=BB0_681 Depth=2
	s_and_not1_saveexec_b32 s8, s21
; %bb.753:                              ;   in Loop: Header=BB0_681 Depth=2
	v_or_b32_e32 v117, 0x7b, v3
; %bb.754:                              ;   in Loop: Header=BB0_681 Depth=2
	s_or_b32 exec_lo, exec_lo, s8
                                        ; implicit-def: $vgpr40
                                        ; implicit-def: $vgpr118_vgpr119
                                        ; implicit-def: $vgpr3
.LBB0_755:                              ;   in Loop: Header=BB0_681 Depth=2
	s_and_not1_saveexec_b32 s8, s20
	s_cbranch_execz .LBB0_761
; %bb.756:                              ;   in Loop: Header=BB0_681 Depth=2
	s_mov_b32 s20, exec_lo
                                        ; implicit-def: $vgpr117
	v_cmpx_ne_u64_e32 0, v[118:119]
	s_xor_b32 s20, exec_lo, s20
; %bb.757:                              ;   in Loop: Header=BB0_681 Depth=2
	v_or_b32_e32 v117, 0x7f, v3
                                        ; implicit-def: $vgpr40
; %bb.758:                              ;   in Loop: Header=BB0_681 Depth=2
	s_and_not1_saveexec_b32 s20, s20
; %bb.759:                              ;   in Loop: Header=BB0_681 Depth=2
	v_cmp_lt_i32_e32 vcc_lo, -1, v40
	v_cndmask_b32_e32 v117, 0xfc, v58, vcc_lo
; %bb.760:                              ;   in Loop: Header=BB0_681 Depth=2
	s_or_b32 exec_lo, exec_lo, s20
.LBB0_761:                              ;   in Loop: Header=BB0_681 Depth=2
	s_delay_alu instid0(SALU_CYCLE_1) | instskip(SKIP_2) | instid1(VALU_DEP_2)
	s_or_b32 exec_lo, exec_lo, s8
	v_lshrrev_b16 v40, 8, v2
	v_lshrrev_b16 v118, 8, v54
                                        ; implicit-def: $vgpr30
	v_and_b32_e32 v119, 0xffff, v40
	v_cmp_ne_u16_e32 vcc_lo, 0, v40
	s_and_saveexec_b32 s8, s6
	s_delay_alu instid0(SALU_CYCLE_1)
	s_xor_b32 s20, exec_lo, s8
	s_cbranch_execz .LBB0_783
; %bb.762:                              ;   in Loop: Header=BB0_681 Depth=2
	v_dual_mov_b32 v30, 0 :: v_dual_mov_b32 v3, 0
	s_and_saveexec_b32 s21, vcc_lo
	s_cbranch_execz .LBB0_772
; %bb.763:                              ;   in Loop: Header=BB0_681 Depth=2
	v_bfrev_b32_e32 v3, 1
	s_mov_b32 s22, exec_lo
	v_cmpx_ne_u16_e32 0x80, v40
	s_cbranch_execz .LBB0_771
; %bb.764:                              ;   in Loop: Header=BB0_681 Depth=2
	v_and_b32_e32 v3, 0x7c, v119
	v_and_b32_e32 v41, 3, v119
	s_delay_alu instid0(VALU_DEP_2) | instskip(SKIP_1) | instid1(SALU_CYCLE_1)
	v_cmp_ne_u32_e64 s8, 0x7c, v3
                                        ; implicit-def: $vgpr3
	s_and_saveexec_b32 s23, s8
	s_xor_b32 s23, exec_lo, s23
	s_cbranch_execz .LBB0_768
; %bb.765:                              ;   in Loop: Header=BB0_681 Depth=2
	v_bfe_u32 v3, v119, 2, 5
	s_mov_b32 s24, exec_lo
	s_delay_alu instid0(VALU_DEP_1)
	v_cmpx_eq_u32_e32 0, v3
	s_cbranch_execz .LBB0_767
; %bb.766:                              ;   in Loop: Header=BB0_681 Depth=2
	v_clz_i32_u32_e32 v3, v41
	s_delay_alu instid0(VALU_DEP_1) | instskip(SKIP_1) | instid1(VALU_DEP_2)
	v_min_u32_e32 v3, 32, v3
	v_mov_b32_e32 v41, v55
	v_subrev_nc_u32_e32 v119, 29, v3
	v_sub_nc_u32_e32 v3, 30, v3
	s_delay_alu instid0(VALU_DEP_2) | instskip(NEXT) | instid1(VALU_DEP_1)
	v_lshlrev_b64_e32 v[40:41], v119, v[40:41]
	v_and_b32_e32 v41, 3, v40
.LBB0_767:                              ;   in Loop: Header=BB0_681 Depth=2
	s_or_b32 exec_lo, exec_lo, s24
	v_lshlrev_b32_e32 v119, 16, v2
	s_delay_alu instid0(VALU_DEP_1) | instskip(NEXT) | instid1(VALU_DEP_1)
	v_and_b32_e32 v119, 0x80000000, v119
	v_lshl_add_u32 v3, v3, 23, v119
	s_delay_alu instid0(VALU_DEP_1) | instskip(NEXT) | instid1(VALU_DEP_1)
	v_lshl_or_b32 v3, v41, 21, v3
                                        ; implicit-def: $vgpr41
	v_add_nc_u32_e32 v3, 0x38000000, v3
.LBB0_768:                              ;   in Loop: Header=BB0_681 Depth=2
	s_and_not1_saveexec_b32 s23, s23
; %bb.769:                              ;   in Loop: Header=BB0_681 Depth=2
	v_cmp_lt_i16_e64 s8, -1, v2
	s_delay_alu instid0(VALU_DEP_1) | instskip(SKIP_1) | instid1(VALU_DEP_1)
	v_cndmask_b32_e64 v3, 0xff800000, v21, s8
	v_cmp_eq_u32_e64 s8, 0, v41
	v_cndmask_b32_e64 v3, 0x7f800001, v3, s8
; %bb.770:                              ;   in Loop: Header=BB0_681 Depth=2
	s_or_b32 exec_lo, exec_lo, s23
.LBB0_771:                              ;   in Loop: Header=BB0_681 Depth=2
	s_delay_alu instid0(SALU_CYCLE_1)
	s_or_b32 exec_lo, exec_lo, s22
.LBB0_772:                              ;   in Loop: Header=BB0_681 Depth=2
	s_delay_alu instid0(SALU_CYCLE_1) | instskip(NEXT) | instid1(SALU_CYCLE_1)
	s_or_b32 exec_lo, exec_lo, s21
	s_mov_b32 s21, exec_lo
	v_cmpx_ne_u16_e32 0, v118
	s_cbranch_execz .LBB0_782
; %bb.773:                              ;   in Loop: Header=BB0_681 Depth=2
	v_bfrev_b32_e32 v30, 1
	s_mov_b32 s22, exec_lo
	v_cmpx_ne_u16_e32 0x80, v118
	s_cbranch_execz .LBB0_781
; %bb.774:                              ;   in Loop: Header=BB0_681 Depth=2
	v_and_b32_e32 v40, 0xffff, v118
	s_delay_alu instid0(VALU_DEP_1) | instskip(SKIP_1) | instid1(VALU_DEP_2)
	v_and_b32_e32 v30, 0x7c, v40
	v_and_b32_e32 v119, 3, v40
	v_cmp_ne_u32_e64 s8, 0x7c, v30
                                        ; implicit-def: $vgpr30
	s_and_saveexec_b32 s23, s8
	s_delay_alu instid0(SALU_CYCLE_1)
	s_xor_b32 s23, exec_lo, s23
	s_cbranch_execz .LBB0_778
; %bb.775:                              ;   in Loop: Header=BB0_681 Depth=2
	v_bfe_u32 v30, v40, 2, 5
	s_mov_b32 s24, exec_lo
	s_delay_alu instid0(VALU_DEP_1)
	v_cmpx_eq_u32_e32 0, v30
	s_cbranch_execz .LBB0_777
; %bb.776:                              ;   in Loop: Header=BB0_681 Depth=2
	v_clz_i32_u32_e32 v30, v119
	s_delay_alu instid0(VALU_DEP_1) | instskip(SKIP_1) | instid1(VALU_DEP_2)
	v_min_u32_e32 v30, 32, v30
	v_mov_b32_e32 v119, v55
	v_subrev_nc_u32_e32 v40, 29, v30
	v_sub_nc_u32_e32 v30, 30, v30
	s_delay_alu instid0(VALU_DEP_2) | instskip(NEXT) | instid1(VALU_DEP_1)
	v_lshlrev_b64_e32 v[118:119], v40, v[118:119]
	v_and_b32_e32 v119, 3, v118
.LBB0_777:                              ;   in Loop: Header=BB0_681 Depth=2
	s_or_b32 exec_lo, exec_lo, s24
	v_lshlrev_b32_e32 v118, 16, v54
	s_delay_alu instid0(VALU_DEP_1) | instskip(NEXT) | instid1(VALU_DEP_1)
	v_and_b32_e32 v118, 0x80000000, v118
	v_lshl_add_u32 v30, v30, 23, v118
	s_delay_alu instid0(VALU_DEP_1) | instskip(NEXT) | instid1(VALU_DEP_1)
	v_lshl_or_b32 v30, v119, 21, v30
                                        ; implicit-def: $vgpr119
	v_add_nc_u32_e32 v30, 0x38000000, v30
.LBB0_778:                              ;   in Loop: Header=BB0_681 Depth=2
	s_and_not1_saveexec_b32 s23, s23
; %bb.779:                              ;   in Loop: Header=BB0_681 Depth=2
	v_cmp_lt_i16_e64 s8, -1, v54
	s_delay_alu instid0(VALU_DEP_1) | instskip(SKIP_1) | instid1(VALU_DEP_1)
	v_cndmask_b32_e64 v30, 0xff800000, v21, s8
	v_cmp_eq_u32_e64 s8, 0, v119
	v_cndmask_b32_e64 v30, 0x7f800001, v30, s8
; %bb.780:                              ;   in Loop: Header=BB0_681 Depth=2
	s_or_b32 exec_lo, exec_lo, s23
.LBB0_781:                              ;   in Loop: Header=BB0_681 Depth=2
	s_delay_alu instid0(SALU_CYCLE_1)
	s_or_b32 exec_lo, exec_lo, s22
.LBB0_782:                              ;   in Loop: Header=BB0_681 Depth=2
	s_delay_alu instid0(SALU_CYCLE_1) | instskip(NEXT) | instid1(VALU_DEP_1)
	s_or_b32 exec_lo, exec_lo, s21
	v_dual_max_num_f32 v30, v30, v30 :: v_dual_max_num_f32 v3, v3, v3
                                        ; implicit-def: $vgpr118
                                        ; implicit-def: $vgpr40
                                        ; implicit-def: $vgpr119
	s_delay_alu instid0(VALU_DEP_1)
	v_max_num_f32_e32 v30, v3, v30
.LBB0_783:                              ;   in Loop: Header=BB0_681 Depth=2
	s_and_not1_saveexec_b32 s8, s20
	s_cbranch_execz .LBB0_805
; %bb.784:                              ;   in Loop: Header=BB0_681 Depth=2
	v_dual_mov_b32 v30, 0 :: v_dual_mov_b32 v3, 0
	s_and_saveexec_b32 s20, vcc_lo
	s_cbranch_execz .LBB0_794
; %bb.785:                              ;   in Loop: Header=BB0_681 Depth=2
	v_bfrev_b32_e32 v3, 1
	s_mov_b32 s21, exec_lo
	v_cmpx_ne_u16_e32 0x80, v40
	s_cbranch_execz .LBB0_793
; %bb.786:                              ;   in Loop: Header=BB0_681 Depth=2
	v_and_b32_e32 v3, 0x7c, v119
	v_and_b32_e32 v41, 3, v119
	s_delay_alu instid0(VALU_DEP_2) | instskip(SKIP_1) | instid1(SALU_CYCLE_1)
	v_cmp_ne_u32_e32 vcc_lo, 0x7c, v3
                                        ; implicit-def: $vgpr3
	s_and_saveexec_b32 s22, vcc_lo
	s_xor_b32 s22, exec_lo, s22
	s_cbranch_execz .LBB0_790
; %bb.787:                              ;   in Loop: Header=BB0_681 Depth=2
	v_bfe_u32 v3, v119, 2, 5
	s_mov_b32 s23, exec_lo
	s_delay_alu instid0(VALU_DEP_1)
	v_cmpx_eq_u32_e32 0, v3
	s_cbranch_execz .LBB0_789
; %bb.788:                              ;   in Loop: Header=BB0_681 Depth=2
	v_clz_i32_u32_e32 v3, v41
	s_delay_alu instid0(VALU_DEP_1) | instskip(SKIP_1) | instid1(VALU_DEP_2)
	v_min_u32_e32 v3, 32, v3
	v_mov_b32_e32 v41, v55
	v_subrev_nc_u32_e32 v119, 29, v3
	v_sub_nc_u32_e32 v3, 30, v3
	s_delay_alu instid0(VALU_DEP_2) | instskip(NEXT) | instid1(VALU_DEP_1)
	v_lshlrev_b64_e32 v[40:41], v119, v[40:41]
	v_and_b32_e32 v41, 3, v40
.LBB0_789:                              ;   in Loop: Header=BB0_681 Depth=2
	s_or_b32 exec_lo, exec_lo, s23
	v_lshlrev_b32_e32 v119, 16, v2
	s_delay_alu instid0(VALU_DEP_1) | instskip(NEXT) | instid1(VALU_DEP_1)
	v_and_b32_e32 v119, 0x80000000, v119
	v_lshl_add_u32 v3, v3, 23, v119
	s_delay_alu instid0(VALU_DEP_1) | instskip(NEXT) | instid1(VALU_DEP_1)
	v_lshl_or_b32 v3, v41, 21, v3
                                        ; implicit-def: $vgpr41
	v_add_nc_u32_e32 v3, 0x38000000, v3
.LBB0_790:                              ;   in Loop: Header=BB0_681 Depth=2
	s_and_not1_saveexec_b32 s22, s22
; %bb.791:                              ;   in Loop: Header=BB0_681 Depth=2
	v_cmp_lt_i16_e32 vcc_lo, -1, v2
	v_cndmask_b32_e32 v3, 0xff800000, v21, vcc_lo
	v_cmp_eq_u32_e32 vcc_lo, 0, v41
	s_delay_alu instid0(VALU_DEP_2)
	v_cndmask_b32_e32 v3, 0x7f800001, v3, vcc_lo
; %bb.792:                              ;   in Loop: Header=BB0_681 Depth=2
	s_or_b32 exec_lo, exec_lo, s22
.LBB0_793:                              ;   in Loop: Header=BB0_681 Depth=2
	s_delay_alu instid0(SALU_CYCLE_1)
	s_or_b32 exec_lo, exec_lo, s21
.LBB0_794:                              ;   in Loop: Header=BB0_681 Depth=2
	s_delay_alu instid0(SALU_CYCLE_1) | instskip(NEXT) | instid1(SALU_CYCLE_1)
	s_or_b32 exec_lo, exec_lo, s20
	s_mov_b32 s20, exec_lo
	v_cmpx_ne_u16_e32 0, v118
	s_cbranch_execz .LBB0_804
; %bb.795:                              ;   in Loop: Header=BB0_681 Depth=2
	v_bfrev_b32_e32 v30, 1
	s_mov_b32 s21, exec_lo
	v_cmpx_ne_u16_e32 0x80, v118
	s_cbranch_execz .LBB0_803
; %bb.796:                              ;   in Loop: Header=BB0_681 Depth=2
	v_and_b32_e32 v40, 0xffff, v118
	s_delay_alu instid0(VALU_DEP_1) | instskip(SKIP_1) | instid1(VALU_DEP_2)
	v_and_b32_e32 v30, 0x7c, v40
	v_and_b32_e32 v119, 3, v40
	v_cmp_ne_u32_e32 vcc_lo, 0x7c, v30
                                        ; implicit-def: $vgpr30
	s_and_saveexec_b32 s22, vcc_lo
	s_delay_alu instid0(SALU_CYCLE_1)
	s_xor_b32 s22, exec_lo, s22
	s_cbranch_execz .LBB0_800
; %bb.797:                              ;   in Loop: Header=BB0_681 Depth=2
	v_bfe_u32 v30, v40, 2, 5
	s_mov_b32 s23, exec_lo
	s_delay_alu instid0(VALU_DEP_1)
	v_cmpx_eq_u32_e32 0, v30
	s_cbranch_execz .LBB0_799
; %bb.798:                              ;   in Loop: Header=BB0_681 Depth=2
	v_clz_i32_u32_e32 v30, v119
	s_delay_alu instid0(VALU_DEP_1) | instskip(SKIP_1) | instid1(VALU_DEP_2)
	v_min_u32_e32 v30, 32, v30
	v_mov_b32_e32 v119, v55
	v_subrev_nc_u32_e32 v40, 29, v30
	v_sub_nc_u32_e32 v30, 30, v30
	s_delay_alu instid0(VALU_DEP_2) | instskip(NEXT) | instid1(VALU_DEP_1)
	v_lshlrev_b64_e32 v[118:119], v40, v[118:119]
	v_and_b32_e32 v119, 3, v118
.LBB0_799:                              ;   in Loop: Header=BB0_681 Depth=2
	s_or_b32 exec_lo, exec_lo, s23
	v_lshlrev_b32_e32 v118, 16, v54
	s_delay_alu instid0(VALU_DEP_1) | instskip(NEXT) | instid1(VALU_DEP_1)
	v_and_b32_e32 v118, 0x80000000, v118
	v_lshl_add_u32 v30, v30, 23, v118
	s_delay_alu instid0(VALU_DEP_1) | instskip(NEXT) | instid1(VALU_DEP_1)
	v_lshl_or_b32 v30, v119, 21, v30
                                        ; implicit-def: $vgpr119
	v_add_nc_u32_e32 v30, 0x38000000, v30
.LBB0_800:                              ;   in Loop: Header=BB0_681 Depth=2
	s_and_not1_saveexec_b32 s22, s22
; %bb.801:                              ;   in Loop: Header=BB0_681 Depth=2
	v_cmp_lt_i16_e32 vcc_lo, -1, v54
	v_cndmask_b32_e32 v30, 0xff800000, v21, vcc_lo
	v_cmp_eq_u32_e32 vcc_lo, 0, v119
	s_delay_alu instid0(VALU_DEP_2)
	v_cndmask_b32_e32 v30, 0x7f800001, v30, vcc_lo
; %bb.802:                              ;   in Loop: Header=BB0_681 Depth=2
	s_or_b32 exec_lo, exec_lo, s22
.LBB0_803:                              ;   in Loop: Header=BB0_681 Depth=2
	s_delay_alu instid0(SALU_CYCLE_1)
	s_or_b32 exec_lo, exec_lo, s21
.LBB0_804:                              ;   in Loop: Header=BB0_681 Depth=2
	s_delay_alu instid0(SALU_CYCLE_1) | instskip(NEXT) | instid1(VALU_DEP_1)
	s_or_b32 exec_lo, exec_lo, s20
	v_dual_max_num_f32 v30, v30, v30 :: v_dual_max_num_f32 v3, v3, v3
	s_delay_alu instid0(VALU_DEP_1)
	v_min_num_f32_e32 v30, v3, v30
.LBB0_805:                              ;   in Loop: Header=BB0_681 Depth=2
	s_or_b32 exec_lo, exec_lo, s8
	s_delay_alu instid0(VALU_DEP_1) | instskip(SKIP_4) | instid1(VALU_DEP_3)
	v_and_b32_e32 v40, 0x7f800000, v30
	v_dual_mov_b32 v41, v55 :: v_dual_mov_b32 v119, v55
	v_and_b32_e32 v118, 0x7fffff, v30
	v_lshrrev_b32_e32 v3, 24, v30
                                        ; implicit-def: $vgpr43
	s_mov_b32 s8, exec_lo
	v_cmpx_ne_u64_e32 0x7f800000, v[40:41]
	s_xor_b32 s20, exec_lo, s8
	s_cbranch_execz .LBB0_819
; %bb.806:                              ;   in Loop: Header=BB0_681 Depth=2
	v_and_b32_e32 v40, 0x7fffffff, v30
	v_mov_b32_e32 v41, v55
	v_and_b32_e32 v3, 0x80, v3
                                        ; implicit-def: $vgpr43
	s_mov_b32 s8, exec_lo
	s_delay_alu instid0(VALU_DEP_2)
	v_cmpx_gt_u64_e32 0x47600001, v[40:41]
	s_xor_b32 s21, exec_lo, s8
	s_cbranch_execz .LBB0_816
; %bb.807:                              ;   in Loop: Header=BB0_681 Depth=2
	v_mov_b32_e32 v43, 0
	s_mov_b32 s22, exec_lo
	v_cmpx_ne_u32_e32 0, v30
	s_cbranch_execz .LBB0_815
; %bb.808:                              ;   in Loop: Header=BB0_681 Depth=2
	v_bfe_u32 v30, v30, 23, 8
	v_or_b32_e32 v44, 0x800000, v118
	s_delay_alu instid0(VALU_DEP_2) | instskip(SKIP_1) | instid1(VALU_DEP_2)
	v_sub_nc_u32_e32 v40, 0x71, v30
	v_cmp_gt_u32_e32 vcc_lo, 0x72, v30
	v_cndmask_b32_e32 v40, 0, v40, vcc_lo
	v_cmp_eq_u32_e32 vcc_lo, 0, v30
	s_delay_alu instid0(VALU_DEP_2) | instskip(NEXT) | instid1(VALU_DEP_1)
	v_cndmask_b32_e64 v43, v40, 0x70, vcc_lo
	v_dual_cndmask_b32 v118, v44, v118, vcc_lo :: v_dual_add_nc_u32 v40, 21, v43
	v_add_nc_u32_e32 v47, 20, v43
	s_delay_alu instid0(VALU_DEP_2) | instskip(NEXT) | instid1(VALU_DEP_2)
	v_lshlrev_b64_e64 v[40:41], v40, -1
	v_lshlrev_b64_e64 v[62:63], v47, 1
	s_delay_alu instid0(VALU_DEP_2) | instskip(SKIP_1) | instid1(VALU_DEP_4)
	v_bfi_b32 v40, v40, 0, v118
	v_lshrrev_b64 v[118:119], v43, v[118:119]
	v_bfi_b32 v41, v41, 0, 0
	s_delay_alu instid0(VALU_DEP_1) | instskip(NEXT) | instid1(VALU_DEP_3)
	v_cmp_eq_u64_e64 s8, v[40:41], v[62:63]
	v_mov_b64_e32 v[40:41], v[118:119]
	s_and_saveexec_b32 s23, s8
; %bb.809:                              ;   in Loop: Header=BB0_681 Depth=2
	v_bfe_u32 v40, v118, 21, 1
	v_mov_b32_e32 v41, v55
	s_delay_alu instid0(VALU_DEP_1) | instskip(NEXT) | instid1(VALU_DEP_1)
	v_add_nc_u64_e32 v[40:41], v[118:119], v[40:41]
	v_add_nc_u64_e32 v[40:41], -1, v[40:41]
; %bb.810:                              ;   in Loop: Header=BB0_681 Depth=2
	s_or_b32 exec_lo, exec_lo, s23
	v_add_nc_u32_e32 v30, 0xffffff81, v30
	v_lshrrev_b32_e32 v119, 23, v118
	s_mov_b32 s8, exec_lo
	s_delay_alu instid0(VALU_DEP_2) | instskip(NEXT) | instid1(VALU_DEP_1)
	v_cndmask_b32_e64 v30, v30, 0xffffff82, vcc_lo
	v_add3_u32 v41, v43, v30, v119
	v_and_b32_e32 v30, 0x1fffff, v40
	s_delay_alu instid0(VALU_DEP_2) | instskip(NEXT) | instid1(VALU_DEP_2)
	v_dual_mov_b32 v119, v55 :: v_dual_add_nc_u32 v40, 14, v41
	v_add_nc_u32_e32 v118, v30, v118
                                        ; implicit-def: $vgpr30
	s_delay_alu instid0(VALU_DEP_2)
	v_cmpx_ne_u32_e32 0, v40
	s_xor_b32 s8, exec_lo, s8
; %bb.811:                              ;   in Loop: Header=BB0_681 Depth=2
	s_delay_alu instid0(VALU_DEP_2) | instskip(SKIP_1) | instid1(VALU_DEP_1)
	v_cmp_lt_u64_e32 vcc_lo, 0xffffff, v[118:119]
	v_add_nc_u32_e32 v30, 15, v41
	v_cndmask_b32_e32 v30, v40, v30, vcc_lo
	v_cndmask_b32_e64 v40, 0, 1, vcc_lo
	s_delay_alu instid0(VALU_DEP_1)
	v_lshrrev_b64 v[118:119], v40, v[118:119]
; %bb.812:                              ;   in Loop: Header=BB0_681 Depth=2
	s_and_not1_saveexec_b32 s8, s8
; %bb.813:                              ;   in Loop: Header=BB0_681 Depth=2
	s_delay_alu instid0(VALU_DEP_1)
	v_bfe_u32 v30, v118, 23, 1
; %bb.814:                              ;   in Loop: Header=BB0_681 Depth=2
	s_or_b32 exec_lo, exec_lo, s8
	s_delay_alu instid0(VALU_DEP_2) | instskip(NEXT) | instid1(VALU_DEP_2)
	v_lshrrev_b64 v[118:119], 21, v[118:119]
	v_cmp_gt_i32_e32 vcc_lo, 32, v30
	v_min_i32_e32 v40, 31, v30
	v_cmp_eq_u32_e64 s8, 0, v30
	s_delay_alu instid0(VALU_DEP_2) | instskip(SKIP_1) | instid1(VALU_DEP_2)
	v_dual_cndmask_b32 v119, 0, v119 :: v_dual_lshlrev_b32 v40, 2, v40
	v_cndmask_b32_e32 v118, 3, v118, vcc_lo
	v_and_b32_e32 v40, 0xfc, v40
	s_delay_alu instid0(VALU_DEP_2) | instskip(NEXT) | instid1(VALU_DEP_2)
	v_cmp_eq_u64_e32 vcc_lo, 0, v[118:119]
	v_and_or_b32 v30, v118, 3, v40
	s_and_b32 s8, s8, vcc_lo
	s_delay_alu instid0(VALU_DEP_1) | instid1(SALU_CYCLE_1)
	v_cndmask_b32_e64 v30, v30, 0, s8
	s_delay_alu instid0(VALU_DEP_1)
	v_or_b32_e32 v43, v30, v3
.LBB0_815:                              ;   in Loop: Header=BB0_681 Depth=2
	s_or_b32 exec_lo, exec_lo, s22
                                        ; implicit-def: $vgpr3
.LBB0_816:                              ;   in Loop: Header=BB0_681 Depth=2
	s_and_not1_saveexec_b32 s8, s21
; %bb.817:                              ;   in Loop: Header=BB0_681 Depth=2
	v_or_b32_e32 v43, 0x7b, v3
; %bb.818:                              ;   in Loop: Header=BB0_681 Depth=2
	s_or_b32 exec_lo, exec_lo, s8
                                        ; implicit-def: $vgpr30
                                        ; implicit-def: $vgpr118_vgpr119
                                        ; implicit-def: $vgpr3
.LBB0_819:                              ;   in Loop: Header=BB0_681 Depth=2
	s_and_not1_saveexec_b32 s8, s20
	s_cbranch_execz .LBB0_825
; %bb.820:                              ;   in Loop: Header=BB0_681 Depth=2
	s_mov_b32 s20, exec_lo
                                        ; implicit-def: $vgpr43
	v_cmpx_ne_u64_e32 0, v[118:119]
	s_xor_b32 s20, exec_lo, s20
; %bb.821:                              ;   in Loop: Header=BB0_681 Depth=2
	v_or_b32_e32 v43, 0x7f, v3
                                        ; implicit-def: $vgpr30
; %bb.822:                              ;   in Loop: Header=BB0_681 Depth=2
	s_and_not1_saveexec_b32 s20, s20
; %bb.823:                              ;   in Loop: Header=BB0_681 Depth=2
	v_cmp_lt_i32_e32 vcc_lo, -1, v30
	v_cndmask_b32_e32 v43, 0xfc, v58, vcc_lo
; %bb.824:                              ;   in Loop: Header=BB0_681 Depth=2
	s_or_b32 exec_lo, exec_lo, s20
.LBB0_825:                              ;   in Loop: Header=BB0_681 Depth=2
	s_delay_alu instid0(SALU_CYCLE_1) | instskip(SKIP_2) | instid1(VALU_DEP_2)
	s_or_b32 exec_lo, exec_lo, s8
	v_lshrrev_b32_e32 v118, 16, v2
	v_lshrrev_b32_e32 v30, 16, v54
                                        ; implicit-def: $vgpr40
	v_and_b32_e32 v41, 0xff, v118
	s_delay_alu instid0(VALU_DEP_1) | instskip(SKIP_1) | instid1(SALU_CYCLE_1)
	v_cmp_ne_u16_e32 vcc_lo, 0, v41
	s_and_saveexec_b32 s8, s6
	s_xor_b32 s20, exec_lo, s8
	s_cbranch_execz .LBB0_847
; %bb.826:                              ;   in Loop: Header=BB0_681 Depth=2
	v_dual_mov_b32 v119, 0 :: v_dual_mov_b32 v3, 0
	s_and_saveexec_b32 s21, vcc_lo
	s_cbranch_execz .LBB0_836
; %bb.827:                              ;   in Loop: Header=BB0_681 Depth=2
	v_bfrev_b32_e32 v3, 1
	s_mov_b32 s22, exec_lo
	v_cmpx_ne_u16_e32 0x80, v41
	s_cbranch_execz .LBB0_835
; %bb.828:                              ;   in Loop: Header=BB0_681 Depth=2
	v_and_b32_e32 v3, 0x7c0000, v2
	v_bfe_u32 v40, v2, 16, 2
	s_delay_alu instid0(VALU_DEP_2) | instskip(SKIP_1) | instid1(SALU_CYCLE_1)
	v_cmp_ne_u32_e64 s8, 0x7c0000, v3
                                        ; implicit-def: $vgpr3
	s_and_saveexec_b32 s23, s8
	s_xor_b32 s23, exec_lo, s23
	s_cbranch_execz .LBB0_832
; %bb.829:                              ;   in Loop: Header=BB0_681 Depth=2
	v_bfe_u32 v3, v2, 18, 5
	s_mov_b32 s24, exec_lo
	s_delay_alu instid0(VALU_DEP_1)
	v_cmpx_eq_u32_e32 0, v3
; %bb.830:                              ;   in Loop: Header=BB0_681 Depth=2
	v_clz_i32_u32_e32 v3, v40
	s_delay_alu instid0(VALU_DEP_1) | instskip(NEXT) | instid1(VALU_DEP_1)
	v_min_u32_e32 v3, 32, v3
	v_subrev_nc_u32_e32 v40, 29, v3
	s_delay_alu instid0(VALU_DEP_1) | instskip(NEXT) | instid1(VALU_DEP_1)
	v_lshlrev_b64_e32 v[40:41], v40, v[118:119]
	v_dual_sub_nc_u32 v3, 30, v3 :: v_dual_bitop2_b32 v40, 3, v40 bitop3:0x40
; %bb.831:                              ;   in Loop: Header=BB0_681 Depth=2
	s_or_b32 exec_lo, exec_lo, s24
	v_lshlrev_b32_e32 v118, 24, v118
	s_delay_alu instid0(VALU_DEP_1) | instskip(NEXT) | instid1(VALU_DEP_1)
	v_and_b32_e32 v118, 0x80000000, v118
	v_lshl_add_u32 v3, v3, 23, v118
                                        ; implicit-def: $vgpr118
	s_delay_alu instid0(VALU_DEP_1) | instskip(NEXT) | instid1(VALU_DEP_1)
	v_lshl_or_b32 v3, v40, 21, v3
                                        ; implicit-def: $vgpr40
	v_add_nc_u32_e32 v3, 0x38000000, v3
.LBB0_832:                              ;   in Loop: Header=BB0_681 Depth=2
	s_and_not1_saveexec_b32 s23, s23
; %bb.833:                              ;   in Loop: Header=BB0_681 Depth=2
	v_bfe_i32 v3, v118, 0, 8
	s_delay_alu instid0(VALU_DEP_1) | instskip(NEXT) | instid1(VALU_DEP_1)
	v_cmp_lt_i16_e64 s8, -1, v3
	v_cndmask_b32_e64 v3, 0xff800000, v21, s8
	v_cmp_eq_u32_e64 s8, 0, v40
	s_delay_alu instid0(VALU_DEP_1)
	v_cndmask_b32_e64 v3, 0x7f800001, v3, s8
; %bb.834:                              ;   in Loop: Header=BB0_681 Depth=2
	s_or_b32 exec_lo, exec_lo, s23
.LBB0_835:                              ;   in Loop: Header=BB0_681 Depth=2
	s_delay_alu instid0(SALU_CYCLE_1)
	s_or_b32 exec_lo, exec_lo, s22
.LBB0_836:                              ;   in Loop: Header=BB0_681 Depth=2
	s_delay_alu instid0(SALU_CYCLE_1) | instskip(SKIP_2) | instid1(VALU_DEP_1)
	s_or_b32 exec_lo, exec_lo, s21
	v_lshrrev_b32_e32 v40, 16, v54
	s_mov_b32 s21, exec_lo
	v_and_b32_e32 v118, 0xff, v40
	s_delay_alu instid0(VALU_DEP_1)
	v_cmpx_ne_u16_e32 0, v118
	s_cbranch_execz .LBB0_846
; %bb.837:                              ;   in Loop: Header=BB0_681 Depth=2
	v_bfrev_b32_e32 v119, 1
	s_mov_b32 s22, exec_lo
	v_cmpx_ne_u16_e32 0x80, v118
	s_cbranch_execz .LBB0_845
; %bb.838:                              ;   in Loop: Header=BB0_681 Depth=2
	v_and_b32_e32 v119, 0x7c0000, v54
	v_bfe_u32 v118, v54, 16, 2
	s_delay_alu instid0(VALU_DEP_2) | instskip(SKIP_1) | instid1(SALU_CYCLE_1)
	v_cmp_ne_u32_e64 s8, 0x7c0000, v119
                                        ; implicit-def: $vgpr119
	s_and_saveexec_b32 s23, s8
	s_xor_b32 s23, exec_lo, s23
	s_cbranch_execz .LBB0_842
; %bb.839:                              ;   in Loop: Header=BB0_681 Depth=2
	v_bfe_u32 v119, v54, 18, 5
	s_mov_b32 s24, exec_lo
	s_delay_alu instid0(VALU_DEP_1)
	v_cmpx_eq_u32_e32 0, v119
; %bb.840:                              ;   in Loop: Header=BB0_681 Depth=2
	v_clz_i32_u32_e32 v118, v118
	s_delay_alu instid0(VALU_DEP_1) | instskip(NEXT) | instid1(VALU_DEP_1)
	v_min_u32_e32 v40, 32, v118
	v_subrev_nc_u32_e32 v118, 29, v40
	s_delay_alu instid0(VALU_DEP_1) | instskip(NEXT) | instid1(VALU_DEP_1)
	v_lshlrev_b64_e32 v[118:119], v118, v[30:31]
	v_dual_sub_nc_u32 v119, 30, v40 :: v_dual_bitop2_b32 v118, 3, v118 bitop3:0x40
; %bb.841:                              ;   in Loop: Header=BB0_681 Depth=2
	s_or_b32 exec_lo, exec_lo, s24
	v_lshlrev_b32_e32 v30, 24, v30
                                        ; implicit-def: $vgpr40
	s_delay_alu instid0(VALU_DEP_1) | instskip(NEXT) | instid1(VALU_DEP_1)
	v_and_b32_e32 v30, 0x80000000, v30
	v_lshl_add_u32 v30, v119, 23, v30
	s_delay_alu instid0(VALU_DEP_1) | instskip(NEXT) | instid1(VALU_DEP_1)
	v_lshl_or_b32 v30, v118, 21, v30
                                        ; implicit-def: $vgpr118
	v_add_nc_u32_e32 v119, 0x38000000, v30
.LBB0_842:                              ;   in Loop: Header=BB0_681 Depth=2
	s_and_not1_saveexec_b32 s23, s23
; %bb.843:                              ;   in Loop: Header=BB0_681 Depth=2
	v_bfe_i32 v30, v40, 0, 8
	s_delay_alu instid0(VALU_DEP_1) | instskip(NEXT) | instid1(VALU_DEP_1)
	v_cmp_lt_i16_e64 s8, -1, v30
	v_cndmask_b32_e64 v30, 0xff800000, v21, s8
	v_cmp_eq_u32_e64 s8, 0, v118
	s_delay_alu instid0(VALU_DEP_1)
	v_cndmask_b32_e64 v119, 0x7f800001, v30, s8
; %bb.844:                              ;   in Loop: Header=BB0_681 Depth=2
	s_or_b32 exec_lo, exec_lo, s23
.LBB0_845:                              ;   in Loop: Header=BB0_681 Depth=2
	s_delay_alu instid0(SALU_CYCLE_1)
	s_or_b32 exec_lo, exec_lo, s22
.LBB0_846:                              ;   in Loop: Header=BB0_681 Depth=2
	s_delay_alu instid0(SALU_CYCLE_1) | instskip(NEXT) | instid1(VALU_DEP_1)
	s_or_b32 exec_lo, exec_lo, s21
	v_max_num_f32_e32 v30, v119, v119
	v_max_num_f32_e32 v3, v3, v3
                                        ; implicit-def: $vgpr41
                                        ; implicit-def: $vgpr118
	s_delay_alu instid0(VALU_DEP_1)
	v_max_num_f32_e32 v40, v3, v30
                                        ; implicit-def: $vgpr30
.LBB0_847:                              ;   in Loop: Header=BB0_681 Depth=2
	s_and_not1_saveexec_b32 s8, s20
	s_cbranch_execz .LBB0_869
; %bb.848:                              ;   in Loop: Header=BB0_681 Depth=2
	v_dual_mov_b32 v119, 0 :: v_dual_mov_b32 v3, 0
	s_and_saveexec_b32 s20, vcc_lo
	s_cbranch_execz .LBB0_858
; %bb.849:                              ;   in Loop: Header=BB0_681 Depth=2
	v_bfrev_b32_e32 v3, 1
	s_mov_b32 s21, exec_lo
	v_cmpx_ne_u16_e32 0x80, v41
	s_cbranch_execz .LBB0_857
; %bb.850:                              ;   in Loop: Header=BB0_681 Depth=2
	v_and_b32_e32 v3, 0x7c0000, v2
	v_bfe_u32 v40, v2, 16, 2
	s_delay_alu instid0(VALU_DEP_2) | instskip(SKIP_1) | instid1(SALU_CYCLE_1)
	v_cmp_ne_u32_e32 vcc_lo, 0x7c0000, v3
                                        ; implicit-def: $vgpr3
	s_and_saveexec_b32 s22, vcc_lo
	s_xor_b32 s22, exec_lo, s22
	s_cbranch_execz .LBB0_854
; %bb.851:                              ;   in Loop: Header=BB0_681 Depth=2
	v_bfe_u32 v3, v2, 18, 5
	s_mov_b32 s23, exec_lo
	s_delay_alu instid0(VALU_DEP_1)
	v_cmpx_eq_u32_e32 0, v3
; %bb.852:                              ;   in Loop: Header=BB0_681 Depth=2
	v_clz_i32_u32_e32 v3, v40
	s_delay_alu instid0(VALU_DEP_1) | instskip(NEXT) | instid1(VALU_DEP_1)
	v_min_u32_e32 v3, 32, v3
	v_subrev_nc_u32_e32 v40, 29, v3
	s_delay_alu instid0(VALU_DEP_1) | instskip(NEXT) | instid1(VALU_DEP_1)
	v_lshlrev_b64_e32 v[40:41], v40, v[118:119]
	v_dual_sub_nc_u32 v3, 30, v3 :: v_dual_bitop2_b32 v40, 3, v40 bitop3:0x40
; %bb.853:                              ;   in Loop: Header=BB0_681 Depth=2
	s_or_b32 exec_lo, exec_lo, s23
	v_lshlrev_b32_e32 v118, 24, v118
	s_delay_alu instid0(VALU_DEP_1) | instskip(NEXT) | instid1(VALU_DEP_1)
	v_and_b32_e32 v118, 0x80000000, v118
	v_lshl_add_u32 v3, v3, 23, v118
                                        ; implicit-def: $vgpr118
	s_delay_alu instid0(VALU_DEP_1) | instskip(NEXT) | instid1(VALU_DEP_1)
	v_lshl_or_b32 v3, v40, 21, v3
                                        ; implicit-def: $vgpr40
	v_add_nc_u32_e32 v3, 0x38000000, v3
.LBB0_854:                              ;   in Loop: Header=BB0_681 Depth=2
	s_and_not1_saveexec_b32 s22, s22
; %bb.855:                              ;   in Loop: Header=BB0_681 Depth=2
	v_bfe_i32 v3, v118, 0, 8
	s_delay_alu instid0(VALU_DEP_1) | instskip(SKIP_2) | instid1(VALU_DEP_2)
	v_cmp_lt_i16_e32 vcc_lo, -1, v3
	v_cndmask_b32_e32 v3, 0xff800000, v21, vcc_lo
	v_cmp_eq_u32_e32 vcc_lo, 0, v40
	v_cndmask_b32_e32 v3, 0x7f800001, v3, vcc_lo
; %bb.856:                              ;   in Loop: Header=BB0_681 Depth=2
	s_or_b32 exec_lo, exec_lo, s22
.LBB0_857:                              ;   in Loop: Header=BB0_681 Depth=2
	s_delay_alu instid0(SALU_CYCLE_1)
	s_or_b32 exec_lo, exec_lo, s21
.LBB0_858:                              ;   in Loop: Header=BB0_681 Depth=2
	s_delay_alu instid0(SALU_CYCLE_1) | instskip(SKIP_2) | instid1(VALU_DEP_1)
	s_or_b32 exec_lo, exec_lo, s20
	v_lshrrev_b32_e32 v40, 16, v54
	s_mov_b32 s20, exec_lo
	v_and_b32_e32 v118, 0xff, v40
	s_delay_alu instid0(VALU_DEP_1)
	v_cmpx_ne_u16_e32 0, v118
	s_cbranch_execz .LBB0_868
; %bb.859:                              ;   in Loop: Header=BB0_681 Depth=2
	v_bfrev_b32_e32 v119, 1
	s_mov_b32 s21, exec_lo
	v_cmpx_ne_u16_e32 0x80, v118
	s_cbranch_execz .LBB0_867
; %bb.860:                              ;   in Loop: Header=BB0_681 Depth=2
	v_and_b32_e32 v119, 0x7c0000, v54
	v_bfe_u32 v118, v54, 16, 2
	s_delay_alu instid0(VALU_DEP_2) | instskip(SKIP_1) | instid1(SALU_CYCLE_1)
	v_cmp_ne_u32_e32 vcc_lo, 0x7c0000, v119
                                        ; implicit-def: $vgpr119
	s_and_saveexec_b32 s22, vcc_lo
	s_xor_b32 s22, exec_lo, s22
	s_cbranch_execz .LBB0_864
; %bb.861:                              ;   in Loop: Header=BB0_681 Depth=2
	v_bfe_u32 v119, v54, 18, 5
	s_mov_b32 s23, exec_lo
	s_delay_alu instid0(VALU_DEP_1)
	v_cmpx_eq_u32_e32 0, v119
; %bb.862:                              ;   in Loop: Header=BB0_681 Depth=2
	v_clz_i32_u32_e32 v118, v118
	s_delay_alu instid0(VALU_DEP_1) | instskip(NEXT) | instid1(VALU_DEP_1)
	v_min_u32_e32 v40, 32, v118
	v_subrev_nc_u32_e32 v118, 29, v40
	s_delay_alu instid0(VALU_DEP_1) | instskip(NEXT) | instid1(VALU_DEP_1)
	v_lshlrev_b64_e32 v[118:119], v118, v[30:31]
	v_dual_sub_nc_u32 v119, 30, v40 :: v_dual_bitop2_b32 v118, 3, v118 bitop3:0x40
; %bb.863:                              ;   in Loop: Header=BB0_681 Depth=2
	s_or_b32 exec_lo, exec_lo, s23
	v_lshlrev_b32_e32 v30, 24, v30
                                        ; implicit-def: $vgpr40
	s_delay_alu instid0(VALU_DEP_1) | instskip(NEXT) | instid1(VALU_DEP_1)
	v_and_b32_e32 v30, 0x80000000, v30
	v_lshl_add_u32 v30, v119, 23, v30
	s_delay_alu instid0(VALU_DEP_1) | instskip(NEXT) | instid1(VALU_DEP_1)
	v_lshl_or_b32 v30, v118, 21, v30
                                        ; implicit-def: $vgpr118
	v_add_nc_u32_e32 v119, 0x38000000, v30
.LBB0_864:                              ;   in Loop: Header=BB0_681 Depth=2
	s_and_not1_saveexec_b32 s22, s22
; %bb.865:                              ;   in Loop: Header=BB0_681 Depth=2
	v_bfe_i32 v30, v40, 0, 8
	s_delay_alu instid0(VALU_DEP_1) | instskip(SKIP_2) | instid1(VALU_DEP_2)
	v_cmp_lt_i16_e32 vcc_lo, -1, v30
	v_cndmask_b32_e32 v30, 0xff800000, v21, vcc_lo
	v_cmp_eq_u32_e32 vcc_lo, 0, v118
	v_cndmask_b32_e32 v119, 0x7f800001, v30, vcc_lo
; %bb.866:                              ;   in Loop: Header=BB0_681 Depth=2
	s_or_b32 exec_lo, exec_lo, s22
.LBB0_867:                              ;   in Loop: Header=BB0_681 Depth=2
	s_delay_alu instid0(SALU_CYCLE_1)
	s_or_b32 exec_lo, exec_lo, s21
.LBB0_868:                              ;   in Loop: Header=BB0_681 Depth=2
	s_delay_alu instid0(SALU_CYCLE_1) | instskip(NEXT) | instid1(VALU_DEP_1)
	s_or_b32 exec_lo, exec_lo, s20
	v_max_num_f32_e32 v30, v119, v119
	v_max_num_f32_e32 v3, v3, v3
	s_delay_alu instid0(VALU_DEP_1)
	v_min_num_f32_e32 v40, v3, v30
.LBB0_869:                              ;   in Loop: Header=BB0_681 Depth=2
	s_or_b32 exec_lo, exec_lo, s8
	s_delay_alu instid0(VALU_DEP_1) | instskip(SKIP_4) | instid1(VALU_DEP_3)
	v_and_b32_e32 v62, 0x7f800000, v40
	v_dual_mov_b32 v63, v55 :: v_dual_mov_b32 v119, v55
	v_and_b32_e32 v118, 0x7fffff, v40
	v_lshrrev_b32_e32 v3, 24, v40
                                        ; implicit-def: $vgpr44
	s_mov_b32 s8, exec_lo
	v_cmpx_ne_u64_e32 0x7f800000, v[62:63]
	s_xor_b32 s20, exec_lo, s8
	s_cbranch_execz .LBB0_883
; %bb.870:                              ;   in Loop: Header=BB0_681 Depth=2
	v_and_b32_e32 v62, 0x7fffffff, v40
	v_mov_b32_e32 v63, v55
	v_and_b32_e32 v3, 0x80, v3
                                        ; implicit-def: $vgpr44
	s_mov_b32 s8, exec_lo
	s_delay_alu instid0(VALU_DEP_2)
	v_cmpx_gt_u64_e32 0x47600001, v[62:63]
	s_xor_b32 s21, exec_lo, s8
	s_cbranch_execz .LBB0_880
; %bb.871:                              ;   in Loop: Header=BB0_681 Depth=2
	v_mov_b32_e32 v44, 0
	s_mov_b32 s22, exec_lo
	v_cmpx_ne_u32_e32 0, v40
	s_cbranch_execz .LBB0_879
; %bb.872:                              ;   in Loop: Header=BB0_681 Depth=2
	v_bfe_u32 v30, v40, 23, 8
	v_or_b32_e32 v41, 0x800000, v118
	s_delay_alu instid0(VALU_DEP_2) | instskip(SKIP_2) | instid1(VALU_DEP_2)
	v_cmp_gt_u32_e64 s8, 0x72, v30
	v_sub_nc_u32_e32 v40, 0x71, v30
	v_cmp_eq_u32_e32 vcc_lo, 0, v30
	v_dual_cndmask_b32 v40, 0, v40, s8 :: v_dual_cndmask_b32 v118, v41, v118, vcc_lo
	s_delay_alu instid0(VALU_DEP_1) | instskip(NEXT) | instid1(VALU_DEP_1)
	v_cndmask_b32_e64 v44, v40, 0x70, vcc_lo
	v_dual_add_nc_u32 v40, 21, v44 :: v_dual_add_nc_u32 v47, 20, v44
	s_delay_alu instid0(VALU_DEP_1) | instskip(NEXT) | instid1(VALU_DEP_2)
	v_lshlrev_b64_e64 v[40:41], v40, -1
	v_lshlrev_b64_e64 v[62:63], v47, 1
	s_delay_alu instid0(VALU_DEP_2) | instskip(SKIP_1) | instid1(VALU_DEP_4)
	v_bfi_b32 v40, v40, 0, v118
	v_lshrrev_b64 v[118:119], v44, v[118:119]
	v_bfi_b32 v41, v41, 0, 0
	s_delay_alu instid0(VALU_DEP_1) | instskip(NEXT) | instid1(VALU_DEP_3)
	v_cmp_eq_u64_e64 s8, v[40:41], v[62:63]
	v_mov_b64_e32 v[40:41], v[118:119]
	s_and_saveexec_b32 s23, s8
; %bb.873:                              ;   in Loop: Header=BB0_681 Depth=2
	v_bfe_u32 v40, v118, 21, 1
	v_mov_b32_e32 v41, v55
	s_delay_alu instid0(VALU_DEP_1) | instskip(NEXT) | instid1(VALU_DEP_1)
	v_add_nc_u64_e32 v[40:41], v[118:119], v[40:41]
	v_add_nc_u64_e32 v[40:41], -1, v[40:41]
; %bb.874:                              ;   in Loop: Header=BB0_681 Depth=2
	s_or_b32 exec_lo, exec_lo, s23
	v_add_nc_u32_e32 v30, 0xffffff81, v30
	v_lshrrev_b32_e32 v119, 23, v118
	s_mov_b32 s8, exec_lo
	s_delay_alu instid0(VALU_DEP_2) | instskip(NEXT) | instid1(VALU_DEP_1)
	v_cndmask_b32_e64 v30, v30, 0xffffff82, vcc_lo
	v_add3_u32 v41, v44, v30, v119
	v_and_b32_e32 v30, 0x1fffff, v40
	s_delay_alu instid0(VALU_DEP_2) | instskip(NEXT) | instid1(VALU_DEP_2)
	v_dual_mov_b32 v119, v55 :: v_dual_add_nc_u32 v40, 14, v41
	v_add_nc_u32_e32 v118, v30, v118
                                        ; implicit-def: $vgpr30
	s_delay_alu instid0(VALU_DEP_2)
	v_cmpx_ne_u32_e32 0, v40
	s_xor_b32 s8, exec_lo, s8
; %bb.875:                              ;   in Loop: Header=BB0_681 Depth=2
	s_delay_alu instid0(VALU_DEP_2) | instskip(SKIP_1) | instid1(VALU_DEP_1)
	v_cmp_lt_u64_e32 vcc_lo, 0xffffff, v[118:119]
	v_add_nc_u32_e32 v30, 15, v41
	v_cndmask_b32_e32 v30, v40, v30, vcc_lo
	v_cndmask_b32_e64 v40, 0, 1, vcc_lo
	s_delay_alu instid0(VALU_DEP_1)
	v_lshrrev_b64 v[118:119], v40, v[118:119]
; %bb.876:                              ;   in Loop: Header=BB0_681 Depth=2
	s_and_not1_saveexec_b32 s8, s8
; %bb.877:                              ;   in Loop: Header=BB0_681 Depth=2
	s_delay_alu instid0(VALU_DEP_1)
	v_bfe_u32 v30, v118, 23, 1
; %bb.878:                              ;   in Loop: Header=BB0_681 Depth=2
	s_or_b32 exec_lo, exec_lo, s8
	s_delay_alu instid0(VALU_DEP_2) | instskip(NEXT) | instid1(VALU_DEP_2)
	v_lshrrev_b64 v[118:119], 21, v[118:119]
	v_cmp_gt_i32_e32 vcc_lo, 32, v30
	v_min_i32_e32 v40, 31, v30
	v_cmp_eq_u32_e64 s8, 0, v30
	s_delay_alu instid0(VALU_DEP_2) | instskip(SKIP_1) | instid1(VALU_DEP_2)
	v_dual_cndmask_b32 v119, 0, v119 :: v_dual_lshlrev_b32 v40, 2, v40
	v_cndmask_b32_e32 v118, 3, v118, vcc_lo
	v_and_b32_e32 v40, 0xfc, v40
	s_delay_alu instid0(VALU_DEP_2) | instskip(NEXT) | instid1(VALU_DEP_2)
	v_cmp_eq_u64_e32 vcc_lo, 0, v[118:119]
	v_and_or_b32 v30, v118, 3, v40
	s_and_b32 s8, s8, vcc_lo
	s_delay_alu instid0(VALU_DEP_1) | instid1(SALU_CYCLE_1)
	v_cndmask_b32_e64 v30, v30, 0, s8
	s_delay_alu instid0(VALU_DEP_1)
	v_or_b32_e32 v44, v30, v3
.LBB0_879:                              ;   in Loop: Header=BB0_681 Depth=2
	s_or_b32 exec_lo, exec_lo, s22
                                        ; implicit-def: $vgpr3
.LBB0_880:                              ;   in Loop: Header=BB0_681 Depth=2
	s_and_not1_saveexec_b32 s8, s21
; %bb.881:                              ;   in Loop: Header=BB0_681 Depth=2
	v_or_b32_e32 v44, 0x7b, v3
; %bb.882:                              ;   in Loop: Header=BB0_681 Depth=2
	s_or_b32 exec_lo, exec_lo, s8
                                        ; implicit-def: $vgpr40
                                        ; implicit-def: $vgpr118_vgpr119
                                        ; implicit-def: $vgpr3
.LBB0_883:                              ;   in Loop: Header=BB0_681 Depth=2
	s_and_not1_saveexec_b32 s8, s20
	s_cbranch_execz .LBB0_889
; %bb.884:                              ;   in Loop: Header=BB0_681 Depth=2
	s_mov_b32 s20, exec_lo
                                        ; implicit-def: $vgpr44
	v_cmpx_ne_u64_e32 0, v[118:119]
	s_xor_b32 s20, exec_lo, s20
; %bb.885:                              ;   in Loop: Header=BB0_681 Depth=2
	v_or_b32_e32 v44, 0x7f, v3
                                        ; implicit-def: $vgpr40
; %bb.886:                              ;   in Loop: Header=BB0_681 Depth=2
	s_and_not1_saveexec_b32 s20, s20
; %bb.887:                              ;   in Loop: Header=BB0_681 Depth=2
	v_cmp_lt_i32_e32 vcc_lo, -1, v40
	v_cndmask_b32_e32 v44, 0xfc, v58, vcc_lo
; %bb.888:                              ;   in Loop: Header=BB0_681 Depth=2
	s_or_b32 exec_lo, exec_lo, s20
.LBB0_889:                              ;   in Loop: Header=BB0_681 Depth=2
	s_delay_alu instid0(SALU_CYCLE_1) | instskip(SKIP_4) | instid1(SALU_CYCLE_1)
	s_or_b32 exec_lo, exec_lo, s8
	v_lshrrev_b32_e32 v118, 24, v2
	v_lshrrev_b32_e32 v30, 24, v54
	v_cmp_lt_u32_e32 vcc_lo, 0xffffff, v2
                                        ; implicit-def: $vgpr3
	s_and_saveexec_b32 s8, s6
	s_xor_b32 s20, exec_lo, s8
	s_cbranch_execz .LBB0_911
; %bb.890:                              ;   in Loop: Header=BB0_681 Depth=2
	v_dual_mov_b32 v119, 0 :: v_dual_mov_b32 v3, 0
	s_and_saveexec_b32 s21, vcc_lo
	s_cbranch_execz .LBB0_900
; %bb.891:                              ;   in Loop: Header=BB0_681 Depth=2
	v_bfrev_b32_e32 v3, 1
	s_mov_b32 s22, exec_lo
	v_cmpx_ne_u32_e32 0x80, v118
	s_cbranch_execz .LBB0_899
; %bb.892:                              ;   in Loop: Header=BB0_681 Depth=2
	v_and_b32_e32 v3, 0x7c000000, v2
	v_bfe_u32 v40, v2, 24, 2
	s_delay_alu instid0(VALU_DEP_2) | instskip(SKIP_1) | instid1(SALU_CYCLE_1)
	v_cmp_ne_u32_e64 s8, 0x7c000000, v3
                                        ; implicit-def: $vgpr3
	s_and_saveexec_b32 s23, s8
	s_xor_b32 s23, exec_lo, s23
	s_cbranch_execz .LBB0_896
; %bb.893:                              ;   in Loop: Header=BB0_681 Depth=2
	v_bfe_u32 v3, v2, 26, 5
	s_mov_b32 s24, exec_lo
	s_delay_alu instid0(VALU_DEP_1)
	v_cmpx_eq_u32_e32 0, v3
; %bb.894:                              ;   in Loop: Header=BB0_681 Depth=2
	v_clz_i32_u32_e32 v3, v40
	s_delay_alu instid0(VALU_DEP_1) | instskip(NEXT) | instid1(VALU_DEP_1)
	v_min_u32_e32 v3, 32, v3
	v_subrev_nc_u32_e32 v40, 29, v3
	s_delay_alu instid0(VALU_DEP_1) | instskip(NEXT) | instid1(VALU_DEP_1)
	v_lshlrev_b64_e32 v[40:41], v40, v[118:119]
	v_dual_sub_nc_u32 v3, 30, v3 :: v_dual_bitop2_b32 v40, 3, v40 bitop3:0x40
; %bb.895:                              ;   in Loop: Header=BB0_681 Depth=2
	s_or_b32 exec_lo, exec_lo, s24
	v_and_b32_e32 v2, 0x80000000, v2
	s_delay_alu instid0(VALU_DEP_1) | instskip(NEXT) | instid1(VALU_DEP_1)
	v_lshl_add_u32 v2, v3, 23, v2
	v_lshl_or_b32 v2, v40, 21, v2
                                        ; implicit-def: $vgpr40
	s_delay_alu instid0(VALU_DEP_1)
	v_add_nc_u32_e32 v3, 0x38000000, v2
.LBB0_896:                              ;   in Loop: Header=BB0_681 Depth=2
	s_and_not1_saveexec_b32 s23, s23
; %bb.897:                              ;   in Loop: Header=BB0_681 Depth=2
	v_cmp_lt_i32_e64 s8, -1, v2
	s_delay_alu instid0(VALU_DEP_1) | instskip(SKIP_1) | instid1(VALU_DEP_1)
	v_cndmask_b32_e64 v2, 0xff800000, v21, s8
	v_cmp_eq_u32_e64 s8, 0, v40
	v_cndmask_b32_e64 v3, 0x7f800001, v2, s8
; %bb.898:                              ;   in Loop: Header=BB0_681 Depth=2
	s_or_b32 exec_lo, exec_lo, s23
.LBB0_899:                              ;   in Loop: Header=BB0_681 Depth=2
	s_delay_alu instid0(SALU_CYCLE_1)
	s_or_b32 exec_lo, exec_lo, s22
.LBB0_900:                              ;   in Loop: Header=BB0_681 Depth=2
	s_delay_alu instid0(SALU_CYCLE_1) | instskip(NEXT) | instid1(SALU_CYCLE_1)
	s_or_b32 exec_lo, exec_lo, s21
	s_mov_b32 s21, exec_lo
	v_cmpx_lt_u32_e32 0xffffff, v54
	s_cbranch_execz .LBB0_910
; %bb.901:                              ;   in Loop: Header=BB0_681 Depth=2
	v_bfrev_b32_e32 v119, 1
	s_mov_b32 s22, exec_lo
	v_cmpx_ne_u32_e32 0x80, v30
	s_cbranch_execz .LBB0_909
; %bb.902:                              ;   in Loop: Header=BB0_681 Depth=2
	v_and_b32_e32 v118, 0x7c000000, v54
	v_bfe_u32 v2, v54, 24, 2
	s_mov_b32 s23, exec_lo
                                        ; implicit-def: $vgpr119
	s_delay_alu instid0(VALU_DEP_2)
	v_cmpx_ne_u32_e32 0x7c000000, v118
	s_xor_b32 s23, exec_lo, s23
	s_cbranch_execz .LBB0_906
; %bb.903:                              ;   in Loop: Header=BB0_681 Depth=2
	v_bfe_u32 v118, v54, 26, 5
	s_mov_b32 s24, exec_lo
	s_delay_alu instid0(VALU_DEP_1)
	v_cmpx_eq_u32_e32 0, v118
; %bb.904:                              ;   in Loop: Header=BB0_681 Depth=2
	v_clz_i32_u32_e32 v2, v2
	s_delay_alu instid0(VALU_DEP_1) | instskip(NEXT) | instid1(VALU_DEP_1)
	v_min_u32_e32 v2, 32, v2
	v_subrev_nc_u32_e32 v118, 29, v2
	s_delay_alu instid0(VALU_DEP_1) | instskip(NEXT) | instid1(VALU_DEP_1)
	v_lshlrev_b64_e32 v[40:41], v118, v[30:31]
	v_dual_sub_nc_u32 v118, 30, v2 :: v_dual_bitop2_b32 v2, 3, v40 bitop3:0x40
; %bb.905:                              ;   in Loop: Header=BB0_681 Depth=2
	s_or_b32 exec_lo, exec_lo, s24
	v_and_b32_e32 v30, 0x80000000, v54
	s_delay_alu instid0(VALU_DEP_1) | instskip(NEXT) | instid1(VALU_DEP_1)
	v_lshl_add_u32 v30, v118, 23, v30
	v_lshl_or_b32 v2, v2, 21, v30
	s_delay_alu instid0(VALU_DEP_1)
	v_add_nc_u32_e32 v119, 0x38000000, v2
                                        ; implicit-def: $vgpr2
.LBB0_906:                              ;   in Loop: Header=BB0_681 Depth=2
	s_and_not1_saveexec_b32 s23, s23
; %bb.907:                              ;   in Loop: Header=BB0_681 Depth=2
	v_cmp_lt_i32_e64 s8, -1, v54
	s_delay_alu instid0(VALU_DEP_1) | instskip(SKIP_1) | instid1(VALU_DEP_1)
	v_cndmask_b32_e64 v30, 0xff800000, v21, s8
	v_cmp_eq_u32_e64 s8, 0, v2
	v_cndmask_b32_e64 v119, 0x7f800001, v30, s8
; %bb.908:                              ;   in Loop: Header=BB0_681 Depth=2
	s_or_b32 exec_lo, exec_lo, s23
.LBB0_909:                              ;   in Loop: Header=BB0_681 Depth=2
	s_delay_alu instid0(SALU_CYCLE_1)
	s_or_b32 exec_lo, exec_lo, s22
.LBB0_910:                              ;   in Loop: Header=BB0_681 Depth=2
	s_delay_alu instid0(SALU_CYCLE_1) | instskip(NEXT) | instid1(VALU_DEP_1)
	s_or_b32 exec_lo, exec_lo, s21
	v_max_num_f32_e32 v2, v119, v119
	v_max_num_f32_e32 v3, v3, v3
                                        ; implicit-def: $vgpr30
                                        ; implicit-def: $vgpr118
	s_delay_alu instid0(VALU_DEP_1)
	v_max_num_f32_e32 v3, v3, v2
.LBB0_911:                              ;   in Loop: Header=BB0_681 Depth=2
	s_and_not1_saveexec_b32 s8, s20
	s_cbranch_execz .LBB0_933
; %bb.912:                              ;   in Loop: Header=BB0_681 Depth=2
	v_dual_mov_b32 v119, 0 :: v_dual_mov_b32 v3, 0
	s_and_saveexec_b32 s20, vcc_lo
	s_cbranch_execz .LBB0_922
; %bb.913:                              ;   in Loop: Header=BB0_681 Depth=2
	v_bfrev_b32_e32 v3, 1
	s_mov_b32 s21, exec_lo
	v_cmpx_ne_u32_e32 0x80, v118
	s_cbranch_execz .LBB0_921
; %bb.914:                              ;   in Loop: Header=BB0_681 Depth=2
	v_and_b32_e32 v3, 0x7c000000, v2
	v_bfe_u32 v40, v2, 24, 2
	s_delay_alu instid0(VALU_DEP_2) | instskip(SKIP_1) | instid1(SALU_CYCLE_1)
	v_cmp_ne_u32_e32 vcc_lo, 0x7c000000, v3
                                        ; implicit-def: $vgpr3
	s_and_saveexec_b32 s22, vcc_lo
	s_xor_b32 s22, exec_lo, s22
	s_cbranch_execz .LBB0_918
; %bb.915:                              ;   in Loop: Header=BB0_681 Depth=2
	v_bfe_u32 v3, v2, 26, 5
	s_mov_b32 s23, exec_lo
	s_delay_alu instid0(VALU_DEP_1)
	v_cmpx_eq_u32_e32 0, v3
; %bb.916:                              ;   in Loop: Header=BB0_681 Depth=2
	v_clz_i32_u32_e32 v3, v40
	s_delay_alu instid0(VALU_DEP_1) | instskip(NEXT) | instid1(VALU_DEP_1)
	v_min_u32_e32 v3, 32, v3
	v_subrev_nc_u32_e32 v40, 29, v3
	s_delay_alu instid0(VALU_DEP_1) | instskip(NEXT) | instid1(VALU_DEP_1)
	v_lshlrev_b64_e32 v[40:41], v40, v[118:119]
	v_dual_sub_nc_u32 v3, 30, v3 :: v_dual_bitop2_b32 v40, 3, v40 bitop3:0x40
; %bb.917:                              ;   in Loop: Header=BB0_681 Depth=2
	s_or_b32 exec_lo, exec_lo, s23
	v_and_b32_e32 v2, 0x80000000, v2
	s_delay_alu instid0(VALU_DEP_1) | instskip(NEXT) | instid1(VALU_DEP_1)
	v_lshl_add_u32 v2, v3, 23, v2
	v_lshl_or_b32 v2, v40, 21, v2
                                        ; implicit-def: $vgpr40
	s_delay_alu instid0(VALU_DEP_1)
	v_add_nc_u32_e32 v3, 0x38000000, v2
.LBB0_918:                              ;   in Loop: Header=BB0_681 Depth=2
	s_and_not1_saveexec_b32 s22, s22
; %bb.919:                              ;   in Loop: Header=BB0_681 Depth=2
	v_cmp_lt_i32_e32 vcc_lo, -1, v2
	v_cndmask_b32_e32 v2, 0xff800000, v21, vcc_lo
	v_cmp_eq_u32_e32 vcc_lo, 0, v40
	s_delay_alu instid0(VALU_DEP_2)
	v_cndmask_b32_e32 v3, 0x7f800001, v2, vcc_lo
; %bb.920:                              ;   in Loop: Header=BB0_681 Depth=2
	s_or_b32 exec_lo, exec_lo, s22
.LBB0_921:                              ;   in Loop: Header=BB0_681 Depth=2
	s_delay_alu instid0(SALU_CYCLE_1)
	s_or_b32 exec_lo, exec_lo, s21
.LBB0_922:                              ;   in Loop: Header=BB0_681 Depth=2
	s_delay_alu instid0(SALU_CYCLE_1) | instskip(NEXT) | instid1(SALU_CYCLE_1)
	s_or_b32 exec_lo, exec_lo, s20
	s_mov_b32 s20, exec_lo
	v_cmpx_lt_u32_e32 0xffffff, v54
	s_cbranch_execz .LBB0_932
; %bb.923:                              ;   in Loop: Header=BB0_681 Depth=2
	v_bfrev_b32_e32 v119, 1
	s_mov_b32 s21, exec_lo
	v_cmpx_ne_u32_e32 0x80, v30
	s_cbranch_execz .LBB0_931
; %bb.924:                              ;   in Loop: Header=BB0_681 Depth=2
	v_and_b32_e32 v118, 0x7c000000, v54
	v_bfe_u32 v2, v54, 24, 2
	s_mov_b32 s22, exec_lo
                                        ; implicit-def: $vgpr119
	s_delay_alu instid0(VALU_DEP_2)
	v_cmpx_ne_u32_e32 0x7c000000, v118
	s_xor_b32 s22, exec_lo, s22
	s_cbranch_execz .LBB0_928
; %bb.925:                              ;   in Loop: Header=BB0_681 Depth=2
	v_bfe_u32 v118, v54, 26, 5
	s_mov_b32 s23, exec_lo
	s_delay_alu instid0(VALU_DEP_1)
	v_cmpx_eq_u32_e32 0, v118
; %bb.926:                              ;   in Loop: Header=BB0_681 Depth=2
	v_clz_i32_u32_e32 v2, v2
	s_delay_alu instid0(VALU_DEP_1) | instskip(NEXT) | instid1(VALU_DEP_1)
	v_min_u32_e32 v2, 32, v2
	v_subrev_nc_u32_e32 v118, 29, v2
	s_delay_alu instid0(VALU_DEP_1) | instskip(NEXT) | instid1(VALU_DEP_1)
	v_lshlrev_b64_e32 v[40:41], v118, v[30:31]
	v_dual_sub_nc_u32 v118, 30, v2 :: v_dual_bitop2_b32 v2, 3, v40 bitop3:0x40
; %bb.927:                              ;   in Loop: Header=BB0_681 Depth=2
	s_or_b32 exec_lo, exec_lo, s23
	v_and_b32_e32 v30, 0x80000000, v54
	s_delay_alu instid0(VALU_DEP_1) | instskip(NEXT) | instid1(VALU_DEP_1)
	v_lshl_add_u32 v30, v118, 23, v30
	v_lshl_or_b32 v2, v2, 21, v30
	s_delay_alu instid0(VALU_DEP_1)
	v_add_nc_u32_e32 v119, 0x38000000, v2
                                        ; implicit-def: $vgpr2
.LBB0_928:                              ;   in Loop: Header=BB0_681 Depth=2
	s_and_not1_saveexec_b32 s22, s22
; %bb.929:                              ;   in Loop: Header=BB0_681 Depth=2
	v_cmp_lt_i32_e32 vcc_lo, -1, v54
	v_cndmask_b32_e32 v30, 0xff800000, v21, vcc_lo
	v_cmp_eq_u32_e32 vcc_lo, 0, v2
	s_delay_alu instid0(VALU_DEP_2)
	v_cndmask_b32_e32 v119, 0x7f800001, v30, vcc_lo
; %bb.930:                              ;   in Loop: Header=BB0_681 Depth=2
	s_or_b32 exec_lo, exec_lo, s22
.LBB0_931:                              ;   in Loop: Header=BB0_681 Depth=2
	s_delay_alu instid0(SALU_CYCLE_1)
	s_or_b32 exec_lo, exec_lo, s21
.LBB0_932:                              ;   in Loop: Header=BB0_681 Depth=2
	s_delay_alu instid0(SALU_CYCLE_1) | instskip(NEXT) | instid1(VALU_DEP_1)
	s_or_b32 exec_lo, exec_lo, s20
	v_max_num_f32_e32 v2, v119, v119
	v_max_num_f32_e32 v3, v3, v3
	s_delay_alu instid0(VALU_DEP_1)
	v_min_num_f32_e32 v3, v3, v2
.LBB0_933:                              ;   in Loop: Header=BB0_681 Depth=2
	s_or_b32 exec_lo, exec_lo, s8
	s_delay_alu instid0(VALU_DEP_1) | instskip(SKIP_3) | instid1(VALU_DEP_2)
	v_and_b32_e32 v118, 0x7f800000, v3
	v_dual_mov_b32 v119, v55 :: v_dual_lshrrev_b32 v2, 24, v3
	v_and_b32_e32 v54, 0x7fffff, v3
                                        ; implicit-def: $vgpr47
	s_mov_b32 s8, exec_lo
	v_cmpx_ne_u64_e32 0x7f800000, v[118:119]
	s_xor_b32 s20, exec_lo, s8
	s_cbranch_execz .LBB0_947
; %bb.934:                              ;   in Loop: Header=BB0_681 Depth=2
	v_and_b32_e32 v118, 0x7fffffff, v3
	v_mov_b32_e32 v119, v55
	v_and_b32_e32 v30, 0x80, v2
                                        ; implicit-def: $vgpr47
	s_mov_b32 s8, exec_lo
	s_delay_alu instid0(VALU_DEP_2)
	v_cmpx_gt_u64_e32 0x47600001, v[118:119]
	s_xor_b32 s21, exec_lo, s8
	s_cbranch_execz .LBB0_944
; %bb.935:                              ;   in Loop: Header=BB0_681 Depth=2
	v_mov_b32_e32 v47, 0
	s_mov_b32 s22, exec_lo
	v_cmpx_ne_u32_e32 0, v3
	s_cbranch_execz .LBB0_943
; %bb.936:                              ;   in Loop: Header=BB0_681 Depth=2
	v_bfe_u32 v40, v3, 23, 8
	v_or_b32_e32 v118, 0x800000, v54
	s_delay_alu instid0(VALU_DEP_2) | instskip(SKIP_1) | instid1(VALU_DEP_2)
	v_sub_nc_u32_e32 v2, 0x71, v40
	v_cmp_gt_u32_e32 vcc_lo, 0x72, v40
	v_cndmask_b32_e32 v2, 0, v2, vcc_lo
	v_cmp_eq_u32_e32 vcc_lo, 0, v40
	s_delay_alu instid0(VALU_DEP_2) | instskip(NEXT) | instid1(VALU_DEP_1)
	v_cndmask_b32_e64 v41, v2, 0x70, vcc_lo
	v_dual_cndmask_b32 v54, v118, v54, vcc_lo :: v_dual_add_nc_u32 v2, 21, v41
	v_add_nc_u32_e32 v119, 20, v41
	s_delay_alu instid0(VALU_DEP_2) | instskip(NEXT) | instid1(VALU_DEP_2)
	v_lshlrev_b64_e64 v[2:3], v2, -1
	v_lshlrev_b64_e64 v[118:119], v119, 1
	s_delay_alu instid0(VALU_DEP_2) | instskip(NEXT) | instid1(VALU_DEP_3)
	v_bfi_b32 v63, v3, 0, 0
	v_bfi_b32 v62, v2, 0, v54
	v_lshrrev_b64 v[2:3], v41, v[54:55]
	s_delay_alu instid0(VALU_DEP_2) | instskip(NEXT) | instid1(VALU_DEP_2)
	v_cmp_eq_u64_e64 s8, v[62:63], v[118:119]
	v_mov_b64_e32 v[118:119], v[2:3]
	s_and_saveexec_b32 s23, s8
; %bb.937:                              ;   in Loop: Header=BB0_681 Depth=2
	v_bfe_u32 v54, v2, 21, 1
	s_delay_alu instid0(VALU_DEP_1) | instskip(NEXT) | instid1(VALU_DEP_1)
	v_add_nc_u64_e32 v[118:119], v[2:3], v[54:55]
	v_add_nc_u64_e32 v[118:119], -1, v[118:119]
; %bb.938:                              ;   in Loop: Header=BB0_681 Depth=2
	s_or_b32 exec_lo, exec_lo, s23
	v_add_nc_u32_e32 v3, 0xffffff81, v40
	v_lshrrev_b32_e32 v54, 23, v2
	s_mov_b32 s8, exec_lo
	s_delay_alu instid0(VALU_DEP_2) | instskip(NEXT) | instid1(VALU_DEP_1)
	v_cndmask_b32_e64 v3, v3, 0xffffff82, vcc_lo
	v_add3_u32 v119, v41, v3, v54
	v_and_b32_e32 v3, 0x1fffff, v118
                                        ; implicit-def: $vgpr118
	s_delay_alu instid0(VALU_DEP_1) | instskip(NEXT) | instid1(VALU_DEP_1)
	v_dual_add_nc_u32 v40, 14, v119 :: v_dual_add_nc_u32 v54, v3, v2
                                        ; implicit-def: $vgpr2_vgpr3
	v_cmpx_ne_u32_e32 0, v40
	s_xor_b32 s8, exec_lo, s8
; %bb.939:                              ;   in Loop: Header=BB0_681 Depth=2
	s_delay_alu instid0(VALU_DEP_2) | instskip(SKIP_1) | instid1(VALU_DEP_1)
	v_cmp_lt_u64_e32 vcc_lo, 0xffffff, v[54:55]
	v_add_nc_u32_e32 v2, 15, v119
	v_cndmask_b32_e32 v118, v40, v2, vcc_lo
	v_cndmask_b32_e64 v2, 0, 1, vcc_lo
	s_delay_alu instid0(VALU_DEP_1)
	v_lshrrev_b64 v[2:3], v2, v[54:55]
; %bb.940:                              ;   in Loop: Header=BB0_681 Depth=2
	s_and_not1_saveexec_b32 s8, s8
; %bb.941:                              ;   in Loop: Header=BB0_681 Depth=2
	v_mov_b64_e32 v[2:3], v[54:55]
	v_bfe_u32 v118, v54, 23, 1
; %bb.942:                              ;   in Loop: Header=BB0_681 Depth=2
	s_or_b32 exec_lo, exec_lo, s8
	s_delay_alu instid0(VALU_DEP_2) | instskip(NEXT) | instid1(VALU_DEP_2)
	v_lshrrev_b64 v[2:3], 21, v[2:3]
	v_cmp_gt_i32_e32 vcc_lo, 32, v118
	v_min_i32_e32 v54, 31, v118
	v_cmp_eq_u32_e64 s8, 0, v118
	s_delay_alu instid0(VALU_DEP_2) | instskip(SKIP_1) | instid1(VALU_DEP_2)
	v_dual_cndmask_b32 v3, 0, v3 :: v_dual_lshlrev_b32 v54, 2, v54
	v_cndmask_b32_e32 v2, 3, v2, vcc_lo
	v_and_b32_e32 v54, 0xfc, v54
	s_delay_alu instid0(VALU_DEP_2) | instskip(NEXT) | instid1(VALU_DEP_2)
	v_cmp_eq_u64_e32 vcc_lo, 0, v[2:3]
	v_and_or_b32 v2, v2, 3, v54
	s_and_b32 s8, s8, vcc_lo
	s_delay_alu instid0(VALU_DEP_1) | instid1(SALU_CYCLE_1)
	v_cndmask_b32_e64 v2, v2, 0, s8
	s_delay_alu instid0(VALU_DEP_1)
	v_or_b32_e32 v47, v2, v30
.LBB0_943:                              ;   in Loop: Header=BB0_681 Depth=2
	s_or_b32 exec_lo, exec_lo, s22
                                        ; implicit-def: $vgpr30
.LBB0_944:                              ;   in Loop: Header=BB0_681 Depth=2
	s_and_not1_saveexec_b32 s8, s21
; %bb.945:                              ;   in Loop: Header=BB0_681 Depth=2
	v_or_b32_e32 v47, 0x7b, v30
; %bb.946:                              ;   in Loop: Header=BB0_681 Depth=2
	s_or_b32 exec_lo, exec_lo, s8
                                        ; implicit-def: $vgpr3
                                        ; implicit-def: $vgpr2
.LBB0_947:                              ;   in Loop: Header=BB0_681 Depth=2
	s_and_not1_saveexec_b32 s8, s20
	s_cbranch_execz .LBB0_953
; %bb.948:                              ;   in Loop: Header=BB0_681 Depth=2
	s_mov_b32 s20, exec_lo
                                        ; implicit-def: $vgpr47
	v_cmpx_ne_u64_e32 0, v[54:55]
	s_xor_b32 s20, exec_lo, s20
; %bb.949:                              ;   in Loop: Header=BB0_681 Depth=2
	v_or_b32_e32 v47, 0x7f, v2
                                        ; implicit-def: $vgpr3
; %bb.950:                              ;   in Loop: Header=BB0_681 Depth=2
	s_and_not1_saveexec_b32 s20, s20
; %bb.951:                              ;   in Loop: Header=BB0_681 Depth=2
	v_cmp_lt_i32_e32 vcc_lo, -1, v3
	v_cndmask_b32_e32 v47, 0xfc, v58, vcc_lo
; %bb.952:                              ;   in Loop: Header=BB0_681 Depth=2
	s_or_b32 exec_lo, exec_lo, s20
.LBB0_953:                              ;   in Loop: Header=BB0_681 Depth=2
	s_delay_alu instid0(SALU_CYCLE_1) | instskip(SKIP_3) | instid1(VALU_DEP_3)
	s_or_b32 exec_lo, exec_lo, s8
	v_alignbit_b32 v54, v45, v46, v61
	v_and_b32_e32 v3, 0xff, v4
	v_bfe_i32 v118, v4, 0, 8
                                        ; implicit-def: $vgpr30
	v_bfe_i32 v2, v54, 0, 8
	s_delay_alu instid0(VALU_DEP_3) | instskip(SKIP_1) | instid1(SALU_CYCLE_1)
	v_cmp_ne_u16_e32 vcc_lo, 0, v3
	s_and_saveexec_b32 s8, s6
	s_xor_b32 s20, exec_lo, s8
	s_cbranch_execz .LBB0_975
; %bb.954:                              ;   in Loop: Header=BB0_681 Depth=2
	v_dual_mov_b32 v30, 0 :: v_dual_mov_b32 v3, 0
	s_and_saveexec_b32 s21, vcc_lo
	s_cbranch_execz .LBB0_964
; %bb.955:                              ;   in Loop: Header=BB0_681 Depth=2
	v_bfrev_b32_e32 v3, 1
	s_mov_b32 s22, exec_lo
	v_cmpx_ne_u16_e32 0xff80, v118
	s_cbranch_execz .LBB0_963
; %bb.956:                              ;   in Loop: Header=BB0_681 Depth=2
	v_and_b32_e32 v3, 0x7c, v4
	v_and_b32_e32 v119, 3, v4
	s_delay_alu instid0(VALU_DEP_2) | instskip(SKIP_1) | instid1(SALU_CYCLE_1)
	v_cmp_ne_u32_e64 s8, 0x7c, v3
                                        ; implicit-def: $vgpr3
	s_and_saveexec_b32 s23, s8
	s_xor_b32 s23, exec_lo, s23
	s_cbranch_execz .LBB0_960
; %bb.957:                              ;   in Loop: Header=BB0_681 Depth=2
	v_bfe_u32 v3, v4, 2, 5
	s_mov_b32 s24, exec_lo
	s_delay_alu instid0(VALU_DEP_1)
	v_cmpx_eq_u32_e32 0, v3
; %bb.958:                              ;   in Loop: Header=BB0_681 Depth=2
	v_clz_i32_u32_e32 v3, v119
	s_delay_alu instid0(VALU_DEP_1) | instskip(NEXT) | instid1(VALU_DEP_1)
	v_min_u32_e32 v3, 32, v3
	v_subrev_nc_u32_e32 v118, 29, v3
	s_delay_alu instid0(VALU_DEP_1) | instskip(NEXT) | instid1(VALU_DEP_1)
	v_lshlrev_b64_e32 v[118:119], v118, v[4:5]
	v_dual_sub_nc_u32 v3, 30, v3 :: v_dual_bitop2_b32 v119, 3, v118 bitop3:0x40
; %bb.959:                              ;   in Loop: Header=BB0_681 Depth=2
	s_or_b32 exec_lo, exec_lo, s24
	v_lshlrev_b32_e32 v118, 24, v4
	s_delay_alu instid0(VALU_DEP_1) | instskip(NEXT) | instid1(VALU_DEP_1)
	v_and_b32_e32 v118, 0x80000000, v118
	v_lshl_add_u32 v3, v3, 23, v118
                                        ; implicit-def: $vgpr118
	s_delay_alu instid0(VALU_DEP_1) | instskip(NEXT) | instid1(VALU_DEP_1)
	v_lshl_or_b32 v3, v119, 21, v3
                                        ; implicit-def: $vgpr119
	v_add_nc_u32_e32 v3, 0x38000000, v3
.LBB0_960:                              ;   in Loop: Header=BB0_681 Depth=2
	s_and_not1_saveexec_b32 s23, s23
; %bb.961:                              ;   in Loop: Header=BB0_681 Depth=2
	v_cmp_lt_i16_e64 s8, -1, v118
	s_delay_alu instid0(VALU_DEP_1) | instskip(SKIP_1) | instid1(VALU_DEP_1)
	v_cndmask_b32_e64 v3, 0xff800000, v21, s8
	v_cmp_eq_u32_e64 s8, 0, v119
	v_cndmask_b32_e64 v3, 0x7f800001, v3, s8
; %bb.962:                              ;   in Loop: Header=BB0_681 Depth=2
	s_or_b32 exec_lo, exec_lo, s23
.LBB0_963:                              ;   in Loop: Header=BB0_681 Depth=2
	s_delay_alu instid0(SALU_CYCLE_1)
	s_or_b32 exec_lo, exec_lo, s22
.LBB0_964:                              ;   in Loop: Header=BB0_681 Depth=2
	s_delay_alu instid0(SALU_CYCLE_1) | instskip(NEXT) | instid1(SALU_CYCLE_1)
	s_or_b32 exec_lo, exec_lo, s21
	s_mov_b32 s21, exec_lo
	v_cmpx_ne_u16_e32 0, v2
	s_cbranch_execz .LBB0_974
; %bb.965:                              ;   in Loop: Header=BB0_681 Depth=2
	v_bfrev_b32_e32 v30, 1
	s_mov_b32 s22, exec_lo
	v_cmpx_ne_u16_e32 0xff80, v2
	s_cbranch_execz .LBB0_973
; %bb.966:                              ;   in Loop: Header=BB0_681 Depth=2
	v_and_b32_e32 v30, 0x7c, v54
	v_and_b32_e32 v118, 3, v54
	s_delay_alu instid0(VALU_DEP_2) | instskip(SKIP_1) | instid1(SALU_CYCLE_1)
	v_cmp_ne_u32_e64 s8, 0x7c, v30
                                        ; implicit-def: $vgpr30
	s_and_saveexec_b32 s23, s8
	s_xor_b32 s23, exec_lo, s23
	s_cbranch_execz .LBB0_970
; %bb.967:                              ;   in Loop: Header=BB0_681 Depth=2
	v_bfe_u32 v2, v54, 2, 5
	s_mov_b32 s24, exec_lo
	s_delay_alu instid0(VALU_DEP_1)
	v_cmpx_eq_u32_e32 0, v2
; %bb.968:                              ;   in Loop: Header=BB0_681 Depth=2
	v_clz_i32_u32_e32 v2, v118
	s_delay_alu instid0(VALU_DEP_1) | instskip(NEXT) | instid1(VALU_DEP_1)
	v_min_u32_e32 v2, 32, v2
	v_subrev_nc_u32_e32 v30, 29, v2
	v_sub_nc_u32_e32 v2, 30, v2
	s_delay_alu instid0(VALU_DEP_2) | instskip(NEXT) | instid1(VALU_DEP_1)
	v_lshlrev_b64_e32 v[118:119], v30, v[54:55]
	v_and_b32_e32 v118, 3, v118
; %bb.969:                              ;   in Loop: Header=BB0_681 Depth=2
	s_or_b32 exec_lo, exec_lo, s24
	v_lshlrev_b32_e32 v30, 24, v54
	s_delay_alu instid0(VALU_DEP_1) | instskip(NEXT) | instid1(VALU_DEP_1)
	v_and_b32_e32 v30, 0x80000000, v30
	v_lshl_add_u32 v2, v2, 23, v30
	s_delay_alu instid0(VALU_DEP_1) | instskip(NEXT) | instid1(VALU_DEP_1)
	v_lshl_or_b32 v2, v118, 21, v2
                                        ; implicit-def: $vgpr118
	v_add_nc_u32_e32 v30, 0x38000000, v2
                                        ; implicit-def: $vgpr2
.LBB0_970:                              ;   in Loop: Header=BB0_681 Depth=2
	s_and_not1_saveexec_b32 s23, s23
; %bb.971:                              ;   in Loop: Header=BB0_681 Depth=2
	v_cmp_lt_i16_e64 s8, -1, v2
	s_delay_alu instid0(VALU_DEP_1) | instskip(SKIP_1) | instid1(VALU_DEP_1)
	v_cndmask_b32_e64 v2, 0xff800000, v21, s8
	v_cmp_eq_u32_e64 s8, 0, v118
	v_cndmask_b32_e64 v30, 0x7f800001, v2, s8
; %bb.972:                              ;   in Loop: Header=BB0_681 Depth=2
	s_or_b32 exec_lo, exec_lo, s23
.LBB0_973:                              ;   in Loop: Header=BB0_681 Depth=2
	s_delay_alu instid0(SALU_CYCLE_1)
	s_or_b32 exec_lo, exec_lo, s22
.LBB0_974:                              ;   in Loop: Header=BB0_681 Depth=2
	s_delay_alu instid0(SALU_CYCLE_1) | instskip(NEXT) | instid1(VALU_DEP_1)
	s_or_b32 exec_lo, exec_lo, s21
	v_dual_max_num_f32 v2, v30, v30 :: v_dual_max_num_f32 v3, v3, v3
                                        ; implicit-def: $vgpr118
	s_delay_alu instid0(VALU_DEP_1)
	v_max_num_f32_e32 v30, v3, v2
                                        ; implicit-def: $vgpr2
.LBB0_975:                              ;   in Loop: Header=BB0_681 Depth=2
	s_and_not1_saveexec_b32 s8, s20
	s_cbranch_execz .LBB0_997
; %bb.976:                              ;   in Loop: Header=BB0_681 Depth=2
	v_dual_mov_b32 v30, 0 :: v_dual_mov_b32 v3, 0
	s_and_saveexec_b32 s20, vcc_lo
	s_cbranch_execz .LBB0_986
; %bb.977:                              ;   in Loop: Header=BB0_681 Depth=2
	v_bfrev_b32_e32 v3, 1
	s_mov_b32 s21, exec_lo
	v_cmpx_ne_u16_e32 0xff80, v118
	s_cbranch_execz .LBB0_985
; %bb.978:                              ;   in Loop: Header=BB0_681 Depth=2
	v_and_b32_e32 v3, 0x7c, v4
	v_and_b32_e32 v119, 3, v4
	s_delay_alu instid0(VALU_DEP_2) | instskip(SKIP_1) | instid1(SALU_CYCLE_1)
	v_cmp_ne_u32_e32 vcc_lo, 0x7c, v3
                                        ; implicit-def: $vgpr3
	s_and_saveexec_b32 s22, vcc_lo
	s_xor_b32 s22, exec_lo, s22
	s_cbranch_execz .LBB0_982
; %bb.979:                              ;   in Loop: Header=BB0_681 Depth=2
	v_bfe_u32 v3, v4, 2, 5
	s_mov_b32 s23, exec_lo
	s_delay_alu instid0(VALU_DEP_1)
	v_cmpx_eq_u32_e32 0, v3
; %bb.980:                              ;   in Loop: Header=BB0_681 Depth=2
	v_clz_i32_u32_e32 v3, v119
	s_delay_alu instid0(VALU_DEP_1) | instskip(NEXT) | instid1(VALU_DEP_1)
	v_min_u32_e32 v3, 32, v3
	v_subrev_nc_u32_e32 v118, 29, v3
	s_delay_alu instid0(VALU_DEP_1) | instskip(NEXT) | instid1(VALU_DEP_1)
	v_lshlrev_b64_e32 v[118:119], v118, v[4:5]
	v_dual_sub_nc_u32 v3, 30, v3 :: v_dual_bitop2_b32 v119, 3, v118 bitop3:0x40
; %bb.981:                              ;   in Loop: Header=BB0_681 Depth=2
	s_or_b32 exec_lo, exec_lo, s23
	v_lshlrev_b32_e32 v5, 24, v4
                                        ; implicit-def: $vgpr118
	s_delay_alu instid0(VALU_DEP_1) | instskip(NEXT) | instid1(VALU_DEP_1)
	v_and_b32_e32 v5, 0x80000000, v5
	v_lshl_add_u32 v3, v3, 23, v5
	s_delay_alu instid0(VALU_DEP_1) | instskip(NEXT) | instid1(VALU_DEP_1)
	v_lshl_or_b32 v3, v119, 21, v3
                                        ; implicit-def: $vgpr119
	v_add_nc_u32_e32 v3, 0x38000000, v3
.LBB0_982:                              ;   in Loop: Header=BB0_681 Depth=2
	s_and_not1_saveexec_b32 s22, s22
; %bb.983:                              ;   in Loop: Header=BB0_681 Depth=2
	v_cmp_lt_i16_e32 vcc_lo, -1, v118
	v_cndmask_b32_e32 v3, 0xff800000, v21, vcc_lo
	v_cmp_eq_u32_e32 vcc_lo, 0, v119
	s_delay_alu instid0(VALU_DEP_2)
	v_cndmask_b32_e32 v3, 0x7f800001, v3, vcc_lo
; %bb.984:                              ;   in Loop: Header=BB0_681 Depth=2
	s_or_b32 exec_lo, exec_lo, s22
.LBB0_985:                              ;   in Loop: Header=BB0_681 Depth=2
	s_delay_alu instid0(SALU_CYCLE_1)
	s_or_b32 exec_lo, exec_lo, s21
.LBB0_986:                              ;   in Loop: Header=BB0_681 Depth=2
	s_delay_alu instid0(SALU_CYCLE_1) | instskip(NEXT) | instid1(SALU_CYCLE_1)
	s_or_b32 exec_lo, exec_lo, s20
	s_mov_b32 s20, exec_lo
	v_cmpx_ne_u16_e32 0, v2
	s_cbranch_execz .LBB0_996
; %bb.987:                              ;   in Loop: Header=BB0_681 Depth=2
	v_bfrev_b32_e32 v30, 1
	s_mov_b32 s21, exec_lo
	v_cmpx_ne_u16_e32 0xff80, v2
	s_cbranch_execz .LBB0_995
; %bb.988:                              ;   in Loop: Header=BB0_681 Depth=2
	v_and_b32_e32 v30, 0x7c, v54
	v_and_b32_e32 v5, 3, v54
	s_delay_alu instid0(VALU_DEP_2) | instskip(SKIP_1) | instid1(SALU_CYCLE_1)
	v_cmp_ne_u32_e32 vcc_lo, 0x7c, v30
                                        ; implicit-def: $vgpr30
	s_and_saveexec_b32 s22, vcc_lo
	s_xor_b32 s22, exec_lo, s22
	s_cbranch_execz .LBB0_992
; %bb.989:                              ;   in Loop: Header=BB0_681 Depth=2
	v_bfe_u32 v2, v54, 2, 5
	s_mov_b32 s23, exec_lo
	s_delay_alu instid0(VALU_DEP_1)
	v_cmpx_eq_u32_e32 0, v2
; %bb.990:                              ;   in Loop: Header=BB0_681 Depth=2
	v_clz_i32_u32_e32 v2, v5
	s_delay_alu instid0(VALU_DEP_1) | instskip(NEXT) | instid1(VALU_DEP_1)
	v_min_u32_e32 v2, 32, v2
	v_subrev_nc_u32_e32 v5, 29, v2
	v_sub_nc_u32_e32 v2, 30, v2
	s_delay_alu instid0(VALU_DEP_2) | instskip(NEXT) | instid1(VALU_DEP_1)
	v_lshlrev_b64_e32 v[118:119], v5, v[54:55]
	v_and_b32_e32 v5, 3, v118
; %bb.991:                              ;   in Loop: Header=BB0_681 Depth=2
	s_or_b32 exec_lo, exec_lo, s23
	v_lshlrev_b32_e32 v30, 24, v54
	s_delay_alu instid0(VALU_DEP_1) | instskip(NEXT) | instid1(VALU_DEP_1)
	v_and_b32_e32 v30, 0x80000000, v30
	v_lshl_add_u32 v2, v2, 23, v30
	s_delay_alu instid0(VALU_DEP_1) | instskip(NEXT) | instid1(VALU_DEP_1)
	v_lshl_or_b32 v2, v5, 21, v2
                                        ; implicit-def: $vgpr5
	v_add_nc_u32_e32 v30, 0x38000000, v2
                                        ; implicit-def: $vgpr2
.LBB0_992:                              ;   in Loop: Header=BB0_681 Depth=2
	s_and_not1_saveexec_b32 s22, s22
; %bb.993:                              ;   in Loop: Header=BB0_681 Depth=2
	v_cmp_lt_i16_e32 vcc_lo, -1, v2
	v_cndmask_b32_e32 v2, 0xff800000, v21, vcc_lo
	v_cmp_eq_u32_e32 vcc_lo, 0, v5
	s_delay_alu instid0(VALU_DEP_2)
	v_cndmask_b32_e32 v30, 0x7f800001, v2, vcc_lo
; %bb.994:                              ;   in Loop: Header=BB0_681 Depth=2
	s_or_b32 exec_lo, exec_lo, s22
.LBB0_995:                              ;   in Loop: Header=BB0_681 Depth=2
	s_delay_alu instid0(SALU_CYCLE_1)
	s_or_b32 exec_lo, exec_lo, s21
.LBB0_996:                              ;   in Loop: Header=BB0_681 Depth=2
	s_delay_alu instid0(SALU_CYCLE_1) | instskip(NEXT) | instid1(VALU_DEP_1)
	s_or_b32 exec_lo, exec_lo, s20
	v_dual_max_num_f32 v2, v30, v30 :: v_dual_max_num_f32 v3, v3, v3
	s_delay_alu instid0(VALU_DEP_1)
	v_min_num_f32_e32 v30, v3, v2
.LBB0_997:                              ;   in Loop: Header=BB0_681 Depth=2
	s_or_b32 exec_lo, exec_lo, s8
	s_delay_alu instid0(VALU_DEP_1) | instskip(SKIP_4) | instid1(VALU_DEP_3)
	v_and_b32_e32 v118, 0x7f800000, v30
	v_dual_mov_b32 v119, v55 :: v_dual_mov_b32 v3, v55
	v_and_b32_e32 v2, 0x7fffff, v30
	v_lshrrev_b32_e32 v5, 24, v30
                                        ; implicit-def: $vgpr45
	s_mov_b32 s8, exec_lo
	v_cmpx_ne_u64_e32 0x7f800000, v[118:119]
	s_xor_b32 s20, exec_lo, s8
	s_cbranch_execz .LBB0_1011
; %bb.998:                              ;   in Loop: Header=BB0_681 Depth=2
	v_and_b32_e32 v118, 0x7fffffff, v30
	v_mov_b32_e32 v119, v55
	v_and_b32_e32 v5, 0x80, v5
                                        ; implicit-def: $vgpr45
	s_mov_b32 s8, exec_lo
	s_delay_alu instid0(VALU_DEP_2)
	v_cmpx_gt_u64_e32 0x47600001, v[118:119]
	s_xor_b32 s21, exec_lo, s8
	s_cbranch_execz .LBB0_1008
; %bb.999:                              ;   in Loop: Header=BB0_681 Depth=2
	v_mov_b32_e32 v45, 0
	s_mov_b32 s22, exec_lo
	v_cmpx_ne_u32_e32 0, v30
	s_cbranch_execz .LBB0_1007
; %bb.1000:                             ;   in Loop: Header=BB0_681 Depth=2
	v_bfe_u32 v30, v30, 23, 8
	v_or_b32_e32 v41, 0x800000, v2
	s_delay_alu instid0(VALU_DEP_2) | instskip(SKIP_1) | instid1(VALU_DEP_2)
	v_sub_nc_u32_e32 v118, 0x71, v30
	v_cmp_gt_u32_e32 vcc_lo, 0x72, v30
	v_cndmask_b32_e32 v118, 0, v118, vcc_lo
	v_cmp_eq_u32_e32 vcc_lo, 0, v30
	s_delay_alu instid0(VALU_DEP_2) | instskip(NEXT) | instid1(VALU_DEP_1)
	v_cndmask_b32_e64 v40, v118, 0x70, vcc_lo
	v_dual_cndmask_b32 v2, v41, v2, vcc_lo :: v_dual_add_nc_u32 v118, 21, v40
	v_add_nc_u32_e32 v45, 20, v40
	s_delay_alu instid0(VALU_DEP_2) | instskip(NEXT) | instid1(VALU_DEP_2)
	v_lshlrev_b64_e64 v[118:119], v118, -1
	v_lshlrev_b64_e64 v[62:63], v45, 1
	s_delay_alu instid0(VALU_DEP_2) | instskip(SKIP_1) | instid1(VALU_DEP_4)
	v_bfi_b32 v118, v118, 0, v2
	v_lshrrev_b64 v[2:3], v40, v[2:3]
	v_bfi_b32 v119, v119, 0, 0
	s_delay_alu instid0(VALU_DEP_1) | instskip(NEXT) | instid1(VALU_DEP_3)
	v_cmp_eq_u64_e64 s8, v[118:119], v[62:63]
	v_mov_b64_e32 v[118:119], v[2:3]
	s_and_saveexec_b32 s23, s8
; %bb.1001:                             ;   in Loop: Header=BB0_681 Depth=2
	v_bfe_u32 v118, v2, 21, 1
	v_mov_b32_e32 v119, v55
	s_delay_alu instid0(VALU_DEP_1) | instskip(NEXT) | instid1(VALU_DEP_1)
	v_add_nc_u64_e32 v[118:119], v[2:3], v[118:119]
	v_add_nc_u64_e32 v[118:119], -1, v[118:119]
; %bb.1002:                             ;   in Loop: Header=BB0_681 Depth=2
	s_or_b32 exec_lo, exec_lo, s23
	v_add_nc_u32_e32 v3, 0xffffff81, v30
	v_lshrrev_b32_e32 v30, 23, v2
	s_mov_b32 s8, exec_lo
	s_delay_alu instid0(VALU_DEP_2) | instskip(NEXT) | instid1(VALU_DEP_1)
	v_cndmask_b32_e64 v3, v3, 0xffffff82, vcc_lo
	v_add3_u32 v119, v40, v3, v30
	v_and_b32_e32 v3, 0x1fffff, v118
                                        ; implicit-def: $vgpr30
	s_delay_alu instid0(VALU_DEP_1) | instskip(SKIP_1) | instid1(VALU_DEP_2)
	v_dual_add_nc_u32 v118, 14, v119 :: v_dual_add_nc_u32 v2, v3, v2
	v_mov_b32_e32 v3, v55
	v_cmpx_ne_u32_e32 0, v118
	s_xor_b32 s8, exec_lo, s8
; %bb.1003:                             ;   in Loop: Header=BB0_681 Depth=2
	s_delay_alu instid0(VALU_DEP_2) | instskip(SKIP_1) | instid1(VALU_DEP_1)
	v_cmp_lt_u64_e32 vcc_lo, 0xffffff, v[2:3]
	v_add_nc_u32_e32 v30, 15, v119
	v_cndmask_b32_e32 v30, v118, v30, vcc_lo
	v_cndmask_b32_e64 v118, 0, 1, vcc_lo
	s_delay_alu instid0(VALU_DEP_1)
	v_lshrrev_b64 v[2:3], v118, v[2:3]
; %bb.1004:                             ;   in Loop: Header=BB0_681 Depth=2
	s_and_not1_saveexec_b32 s8, s8
; %bb.1005:                             ;   in Loop: Header=BB0_681 Depth=2
	s_delay_alu instid0(VALU_DEP_1)
	v_bfe_u32 v30, v2, 23, 1
; %bb.1006:                             ;   in Loop: Header=BB0_681 Depth=2
	s_or_b32 exec_lo, exec_lo, s8
	s_delay_alu instid0(VALU_DEP_2) | instskip(NEXT) | instid1(VALU_DEP_2)
	v_lshrrev_b64 v[2:3], 21, v[2:3]
	v_cmp_gt_i32_e32 vcc_lo, 32, v30
	v_min_i32_e32 v118, 31, v30
	v_cmp_eq_u32_e64 s8, 0, v30
	s_delay_alu instid0(VALU_DEP_2) | instskip(SKIP_1) | instid1(VALU_DEP_2)
	v_dual_cndmask_b32 v3, 0, v3 :: v_dual_lshlrev_b32 v118, 2, v118
	v_cndmask_b32_e32 v2, 3, v2, vcc_lo
	v_and_b32_e32 v118, 0xfc, v118
	s_delay_alu instid0(VALU_DEP_2) | instskip(NEXT) | instid1(VALU_DEP_2)
	v_cmp_eq_u64_e32 vcc_lo, 0, v[2:3]
	v_and_or_b32 v2, v2, 3, v118
	s_and_b32 s8, s8, vcc_lo
	s_delay_alu instid0(VALU_DEP_1) | instid1(SALU_CYCLE_1)
	v_cndmask_b32_e64 v2, v2, 0, s8
	s_delay_alu instid0(VALU_DEP_1)
	v_or_b32_e32 v45, v2, v5
.LBB0_1007:                             ;   in Loop: Header=BB0_681 Depth=2
	s_or_b32 exec_lo, exec_lo, s22
                                        ; implicit-def: $vgpr5
.LBB0_1008:                             ;   in Loop: Header=BB0_681 Depth=2
	s_and_not1_saveexec_b32 s8, s21
; %bb.1009:                             ;   in Loop: Header=BB0_681 Depth=2
	v_or_b32_e32 v45, 0x7b, v5
; %bb.1010:                             ;   in Loop: Header=BB0_681 Depth=2
	s_or_b32 exec_lo, exec_lo, s8
                                        ; implicit-def: $vgpr30
                                        ; implicit-def: $vgpr2_vgpr3
                                        ; implicit-def: $vgpr5
.LBB0_1011:                             ;   in Loop: Header=BB0_681 Depth=2
	s_and_not1_saveexec_b32 s8, s20
	s_cbranch_execz .LBB0_1017
; %bb.1012:                             ;   in Loop: Header=BB0_681 Depth=2
	s_mov_b32 s20, exec_lo
                                        ; implicit-def: $vgpr45
	v_cmpx_ne_u64_e32 0, v[2:3]
	s_xor_b32 s20, exec_lo, s20
; %bb.1013:                             ;   in Loop: Header=BB0_681 Depth=2
	v_or_b32_e32 v45, 0x7f, v5
                                        ; implicit-def: $vgpr30
; %bb.1014:                             ;   in Loop: Header=BB0_681 Depth=2
	s_and_not1_saveexec_b32 s20, s20
; %bb.1015:                             ;   in Loop: Header=BB0_681 Depth=2
	v_cmp_lt_i32_e32 vcc_lo, -1, v30
	v_cndmask_b32_e32 v45, 0xfc, v58, vcc_lo
; %bb.1016:                             ;   in Loop: Header=BB0_681 Depth=2
	s_or_b32 exec_lo, exec_lo, s20
.LBB0_1017:                             ;   in Loop: Header=BB0_681 Depth=2
	s_delay_alu instid0(SALU_CYCLE_1) | instskip(SKIP_2) | instid1(VALU_DEP_2)
	s_or_b32 exec_lo, exec_lo, s8
	v_lshrrev_b16 v118, 8, v4
	v_lshrrev_b16 v2, 8, v54
                                        ; implicit-def: $vgpr30
	v_and_b32_e32 v119, 0xffff, v118
	v_cmp_ne_u16_e32 vcc_lo, 0, v118
	s_and_saveexec_b32 s8, s6
	s_delay_alu instid0(SALU_CYCLE_1)
	s_xor_b32 s20, exec_lo, s8
	s_cbranch_execz .LBB0_1039
; %bb.1018:                             ;   in Loop: Header=BB0_681 Depth=2
	v_dual_mov_b32 v3, 0 :: v_dual_mov_b32 v5, 0
	s_and_saveexec_b32 s21, vcc_lo
	s_cbranch_execz .LBB0_1028
; %bb.1019:                             ;   in Loop: Header=BB0_681 Depth=2
	v_bfrev_b32_e32 v5, 1
	s_mov_b32 s22, exec_lo
	v_cmpx_ne_u16_e32 0x80, v118
	s_cbranch_execz .LBB0_1027
; %bb.1020:                             ;   in Loop: Header=BB0_681 Depth=2
	v_and_b32_e32 v5, 0x7c, v119
	v_and_b32_e32 v30, 3, v119
	s_delay_alu instid0(VALU_DEP_2) | instskip(SKIP_1) | instid1(SALU_CYCLE_1)
	v_cmp_ne_u32_e64 s8, 0x7c, v5
                                        ; implicit-def: $vgpr5
	s_and_saveexec_b32 s23, s8
	s_xor_b32 s23, exec_lo, s23
	s_cbranch_execz .LBB0_1024
; %bb.1021:                             ;   in Loop: Header=BB0_681 Depth=2
	v_bfe_u32 v5, v119, 2, 5
	s_mov_b32 s24, exec_lo
	s_delay_alu instid0(VALU_DEP_1)
	v_cmpx_eq_u32_e32 0, v5
	s_cbranch_execz .LBB0_1023
; %bb.1022:                             ;   in Loop: Header=BB0_681 Depth=2
	v_clz_i32_u32_e32 v5, v30
	s_delay_alu instid0(VALU_DEP_1) | instskip(SKIP_1) | instid1(VALU_DEP_2)
	v_min_u32_e32 v5, 32, v5
	v_mov_b32_e32 v119, v55
	v_subrev_nc_u32_e32 v30, 29, v5
	v_sub_nc_u32_e32 v5, 30, v5
	s_delay_alu instid0(VALU_DEP_2) | instskip(NEXT) | instid1(VALU_DEP_1)
	v_lshlrev_b64_e32 v[118:119], v30, v[118:119]
	v_and_b32_e32 v30, 3, v118
.LBB0_1023:                             ;   in Loop: Header=BB0_681 Depth=2
	s_or_b32 exec_lo, exec_lo, s24
	v_lshlrev_b32_e32 v118, 16, v4
	s_delay_alu instid0(VALU_DEP_1) | instskip(NEXT) | instid1(VALU_DEP_1)
	v_and_b32_e32 v118, 0x80000000, v118
	v_lshl_add_u32 v5, v5, 23, v118
	s_delay_alu instid0(VALU_DEP_1) | instskip(NEXT) | instid1(VALU_DEP_1)
	v_lshl_or_b32 v5, v30, 21, v5
                                        ; implicit-def: $vgpr30
	v_add_nc_u32_e32 v5, 0x38000000, v5
.LBB0_1024:                             ;   in Loop: Header=BB0_681 Depth=2
	s_and_not1_saveexec_b32 s23, s23
; %bb.1025:                             ;   in Loop: Header=BB0_681 Depth=2
	v_cmp_lt_i16_e64 s8, -1, v4
	s_delay_alu instid0(VALU_DEP_1) | instskip(SKIP_1) | instid1(VALU_DEP_1)
	v_cndmask_b32_e64 v5, 0xff800000, v21, s8
	v_cmp_eq_u32_e64 s8, 0, v30
	v_cndmask_b32_e64 v5, 0x7f800001, v5, s8
; %bb.1026:                             ;   in Loop: Header=BB0_681 Depth=2
	s_or_b32 exec_lo, exec_lo, s23
.LBB0_1027:                             ;   in Loop: Header=BB0_681 Depth=2
	s_delay_alu instid0(SALU_CYCLE_1)
	s_or_b32 exec_lo, exec_lo, s22
.LBB0_1028:                             ;   in Loop: Header=BB0_681 Depth=2
	s_delay_alu instid0(SALU_CYCLE_1) | instskip(NEXT) | instid1(SALU_CYCLE_1)
	s_or_b32 exec_lo, exec_lo, s21
	s_mov_b32 s21, exec_lo
	v_cmpx_ne_u16_e32 0, v2
	s_cbranch_execz .LBB0_1038
; %bb.1029:                             ;   in Loop: Header=BB0_681 Depth=2
	v_bfrev_b32_e32 v3, 1
	s_mov_b32 s22, exec_lo
	v_cmpx_ne_u16_e32 0x80, v2
	s_cbranch_execz .LBB0_1037
; %bb.1030:                             ;   in Loop: Header=BB0_681 Depth=2
	v_and_b32_e32 v118, 0xffff, v2
	s_delay_alu instid0(VALU_DEP_1) | instskip(SKIP_1) | instid1(VALU_DEP_2)
	v_and_b32_e32 v3, 0x7c, v118
	v_and_b32_e32 v30, 3, v118
	v_cmp_ne_u32_e64 s8, 0x7c, v3
                                        ; implicit-def: $vgpr3
	s_and_saveexec_b32 s23, s8
	s_delay_alu instid0(SALU_CYCLE_1)
	s_xor_b32 s23, exec_lo, s23
	s_cbranch_execz .LBB0_1034
; %bb.1031:                             ;   in Loop: Header=BB0_681 Depth=2
	v_bfe_u32 v3, v118, 2, 5
	s_mov_b32 s24, exec_lo
	s_delay_alu instid0(VALU_DEP_1)
	v_cmpx_eq_u32_e32 0, v3
	s_cbranch_execz .LBB0_1033
; %bb.1032:                             ;   in Loop: Header=BB0_681 Depth=2
	v_clz_i32_u32_e32 v3, v30
	s_delay_alu instid0(VALU_DEP_1) | instskip(SKIP_1) | instid1(VALU_DEP_2)
	v_min_u32_e32 v30, 32, v3
	v_mov_b32_e32 v3, v55
	v_subrev_nc_u32_e32 v118, 29, v30
	s_delay_alu instid0(VALU_DEP_1) | instskip(SKIP_1) | instid1(VALU_DEP_2)
	v_lshlrev_b64_e32 v[2:3], v118, v[2:3]
	v_sub_nc_u32_e32 v3, 30, v30
	v_and_b32_e32 v30, 3, v2
.LBB0_1033:                             ;   in Loop: Header=BB0_681 Depth=2
	s_or_b32 exec_lo, exec_lo, s24
	v_lshlrev_b32_e32 v2, 16, v54
	s_delay_alu instid0(VALU_DEP_1) | instskip(NEXT) | instid1(VALU_DEP_1)
	v_and_b32_e32 v2, 0x80000000, v2
	v_lshl_add_u32 v2, v3, 23, v2
	s_delay_alu instid0(VALU_DEP_1) | instskip(NEXT) | instid1(VALU_DEP_1)
	v_lshl_or_b32 v2, v30, 21, v2
                                        ; implicit-def: $vgpr30
	v_add_nc_u32_e32 v3, 0x38000000, v2
.LBB0_1034:                             ;   in Loop: Header=BB0_681 Depth=2
	s_and_not1_saveexec_b32 s23, s23
; %bb.1035:                             ;   in Loop: Header=BB0_681 Depth=2
	v_cmp_lt_i16_e64 s8, -1, v54
	s_delay_alu instid0(VALU_DEP_1) | instskip(SKIP_1) | instid1(VALU_DEP_1)
	v_cndmask_b32_e64 v2, 0xff800000, v21, s8
	v_cmp_eq_u32_e64 s8, 0, v30
	v_cndmask_b32_e64 v3, 0x7f800001, v2, s8
; %bb.1036:                             ;   in Loop: Header=BB0_681 Depth=2
	s_or_b32 exec_lo, exec_lo, s23
.LBB0_1037:                             ;   in Loop: Header=BB0_681 Depth=2
	s_delay_alu instid0(SALU_CYCLE_1)
	s_or_b32 exec_lo, exec_lo, s22
.LBB0_1038:                             ;   in Loop: Header=BB0_681 Depth=2
	s_delay_alu instid0(SALU_CYCLE_1) | instskip(NEXT) | instid1(VALU_DEP_1)
	s_or_b32 exec_lo, exec_lo, s21
	v_dual_max_num_f32 v2, v3, v3 :: v_dual_max_num_f32 v3, v5, v5
                                        ; implicit-def: $vgpr118
                                        ; implicit-def: $vgpr119
	s_delay_alu instid0(VALU_DEP_1)
	v_max_num_f32_e32 v30, v3, v2
                                        ; implicit-def: $vgpr2
.LBB0_1039:                             ;   in Loop: Header=BB0_681 Depth=2
	s_and_not1_saveexec_b32 s8, s20
	s_cbranch_execz .LBB0_1061
; %bb.1040:                             ;   in Loop: Header=BB0_681 Depth=2
	v_dual_mov_b32 v3, 0 :: v_dual_mov_b32 v5, 0
	s_and_saveexec_b32 s20, vcc_lo
	s_cbranch_execz .LBB0_1050
; %bb.1041:                             ;   in Loop: Header=BB0_681 Depth=2
	v_bfrev_b32_e32 v5, 1
	s_mov_b32 s21, exec_lo
	v_cmpx_ne_u16_e32 0x80, v118
	s_cbranch_execz .LBB0_1049
; %bb.1042:                             ;   in Loop: Header=BB0_681 Depth=2
	v_and_b32_e32 v5, 0x7c, v119
	v_and_b32_e32 v30, 3, v119
	s_delay_alu instid0(VALU_DEP_2) | instskip(SKIP_1) | instid1(SALU_CYCLE_1)
	v_cmp_ne_u32_e32 vcc_lo, 0x7c, v5
                                        ; implicit-def: $vgpr5
	s_and_saveexec_b32 s22, vcc_lo
	s_xor_b32 s22, exec_lo, s22
	s_cbranch_execz .LBB0_1046
; %bb.1043:                             ;   in Loop: Header=BB0_681 Depth=2
	v_bfe_u32 v5, v119, 2, 5
	s_mov_b32 s23, exec_lo
	s_delay_alu instid0(VALU_DEP_1)
	v_cmpx_eq_u32_e32 0, v5
	s_cbranch_execz .LBB0_1045
; %bb.1044:                             ;   in Loop: Header=BB0_681 Depth=2
	v_clz_i32_u32_e32 v5, v30
	s_delay_alu instid0(VALU_DEP_1) | instskip(SKIP_1) | instid1(VALU_DEP_2)
	v_min_u32_e32 v5, 32, v5
	v_mov_b32_e32 v119, v55
	v_subrev_nc_u32_e32 v30, 29, v5
	v_sub_nc_u32_e32 v5, 30, v5
	s_delay_alu instid0(VALU_DEP_2) | instskip(NEXT) | instid1(VALU_DEP_1)
	v_lshlrev_b64_e32 v[118:119], v30, v[118:119]
	v_and_b32_e32 v30, 3, v118
.LBB0_1045:                             ;   in Loop: Header=BB0_681 Depth=2
	s_or_b32 exec_lo, exec_lo, s23
	v_lshlrev_b32_e32 v118, 16, v4
	s_delay_alu instid0(VALU_DEP_1) | instskip(NEXT) | instid1(VALU_DEP_1)
	v_and_b32_e32 v118, 0x80000000, v118
	v_lshl_add_u32 v5, v5, 23, v118
	s_delay_alu instid0(VALU_DEP_1) | instskip(NEXT) | instid1(VALU_DEP_1)
	v_lshl_or_b32 v5, v30, 21, v5
                                        ; implicit-def: $vgpr30
	v_add_nc_u32_e32 v5, 0x38000000, v5
.LBB0_1046:                             ;   in Loop: Header=BB0_681 Depth=2
	s_and_not1_saveexec_b32 s22, s22
; %bb.1047:                             ;   in Loop: Header=BB0_681 Depth=2
	v_cmp_lt_i16_e32 vcc_lo, -1, v4
	v_cndmask_b32_e32 v5, 0xff800000, v21, vcc_lo
	v_cmp_eq_u32_e32 vcc_lo, 0, v30
	s_delay_alu instid0(VALU_DEP_2)
	v_cndmask_b32_e32 v5, 0x7f800001, v5, vcc_lo
; %bb.1048:                             ;   in Loop: Header=BB0_681 Depth=2
	s_or_b32 exec_lo, exec_lo, s22
.LBB0_1049:                             ;   in Loop: Header=BB0_681 Depth=2
	s_delay_alu instid0(SALU_CYCLE_1)
	s_or_b32 exec_lo, exec_lo, s21
.LBB0_1050:                             ;   in Loop: Header=BB0_681 Depth=2
	s_delay_alu instid0(SALU_CYCLE_1) | instskip(NEXT) | instid1(SALU_CYCLE_1)
	s_or_b32 exec_lo, exec_lo, s20
	s_mov_b32 s20, exec_lo
	v_cmpx_ne_u16_e32 0, v2
	s_cbranch_execz .LBB0_1060
; %bb.1051:                             ;   in Loop: Header=BB0_681 Depth=2
	v_bfrev_b32_e32 v3, 1
	s_mov_b32 s21, exec_lo
	v_cmpx_ne_u16_e32 0x80, v2
	s_cbranch_execz .LBB0_1059
; %bb.1052:                             ;   in Loop: Header=BB0_681 Depth=2
	v_and_b32_e32 v118, 0xffff, v2
	s_delay_alu instid0(VALU_DEP_1) | instskip(SKIP_1) | instid1(VALU_DEP_2)
	v_and_b32_e32 v3, 0x7c, v118
	v_and_b32_e32 v30, 3, v118
	v_cmp_ne_u32_e32 vcc_lo, 0x7c, v3
                                        ; implicit-def: $vgpr3
	s_and_saveexec_b32 s22, vcc_lo
	s_delay_alu instid0(SALU_CYCLE_1)
	s_xor_b32 s22, exec_lo, s22
	s_cbranch_execz .LBB0_1056
; %bb.1053:                             ;   in Loop: Header=BB0_681 Depth=2
	v_bfe_u32 v3, v118, 2, 5
	s_mov_b32 s23, exec_lo
	s_delay_alu instid0(VALU_DEP_1)
	v_cmpx_eq_u32_e32 0, v3
	s_cbranch_execz .LBB0_1055
; %bb.1054:                             ;   in Loop: Header=BB0_681 Depth=2
	v_clz_i32_u32_e32 v3, v30
	s_delay_alu instid0(VALU_DEP_1) | instskip(SKIP_1) | instid1(VALU_DEP_2)
	v_min_u32_e32 v30, 32, v3
	v_mov_b32_e32 v3, v55
	v_subrev_nc_u32_e32 v118, 29, v30
	s_delay_alu instid0(VALU_DEP_1) | instskip(SKIP_1) | instid1(VALU_DEP_2)
	v_lshlrev_b64_e32 v[2:3], v118, v[2:3]
	v_sub_nc_u32_e32 v3, 30, v30
	v_and_b32_e32 v30, 3, v2
.LBB0_1055:                             ;   in Loop: Header=BB0_681 Depth=2
	s_or_b32 exec_lo, exec_lo, s23
	v_lshlrev_b32_e32 v2, 16, v54
	s_delay_alu instid0(VALU_DEP_1) | instskip(NEXT) | instid1(VALU_DEP_1)
	v_and_b32_e32 v2, 0x80000000, v2
	v_lshl_add_u32 v2, v3, 23, v2
	s_delay_alu instid0(VALU_DEP_1) | instskip(NEXT) | instid1(VALU_DEP_1)
	v_lshl_or_b32 v2, v30, 21, v2
                                        ; implicit-def: $vgpr30
	v_add_nc_u32_e32 v3, 0x38000000, v2
.LBB0_1056:                             ;   in Loop: Header=BB0_681 Depth=2
	s_and_not1_saveexec_b32 s22, s22
; %bb.1057:                             ;   in Loop: Header=BB0_681 Depth=2
	v_cmp_lt_i16_e32 vcc_lo, -1, v54
	v_cndmask_b32_e32 v2, 0xff800000, v21, vcc_lo
	v_cmp_eq_u32_e32 vcc_lo, 0, v30
	s_delay_alu instid0(VALU_DEP_2)
	v_cndmask_b32_e32 v3, 0x7f800001, v2, vcc_lo
; %bb.1058:                             ;   in Loop: Header=BB0_681 Depth=2
	s_or_b32 exec_lo, exec_lo, s22
.LBB0_1059:                             ;   in Loop: Header=BB0_681 Depth=2
	s_delay_alu instid0(SALU_CYCLE_1)
	s_or_b32 exec_lo, exec_lo, s21
.LBB0_1060:                             ;   in Loop: Header=BB0_681 Depth=2
	s_delay_alu instid0(SALU_CYCLE_1) | instskip(NEXT) | instid1(VALU_DEP_1)
	s_or_b32 exec_lo, exec_lo, s20
	v_dual_max_num_f32 v2, v3, v3 :: v_dual_max_num_f32 v3, v5, v5
	s_delay_alu instid0(VALU_DEP_1)
	v_min_num_f32_e32 v30, v3, v2
.LBB0_1061:                             ;   in Loop: Header=BB0_681 Depth=2
	s_or_b32 exec_lo, exec_lo, s8
	s_delay_alu instid0(VALU_DEP_1) | instskip(SKIP_4) | instid1(VALU_DEP_3)
	v_and_b32_e32 v118, 0x7f800000, v30
	v_dual_mov_b32 v119, v55 :: v_dual_mov_b32 v3, v55
	v_and_b32_e32 v2, 0x7fffff, v30
	v_lshrrev_b32_e32 v5, 24, v30
                                        ; implicit-def: $vgpr46
	s_mov_b32 s8, exec_lo
	v_cmpx_ne_u64_e32 0x7f800000, v[118:119]
	s_xor_b32 s20, exec_lo, s8
	s_cbranch_execz .LBB0_1075
; %bb.1062:                             ;   in Loop: Header=BB0_681 Depth=2
	v_and_b32_e32 v118, 0x7fffffff, v30
	v_mov_b32_e32 v119, v55
	v_and_b32_e32 v5, 0x80, v5
                                        ; implicit-def: $vgpr46
	s_mov_b32 s8, exec_lo
	s_delay_alu instid0(VALU_DEP_2)
	v_cmpx_gt_u64_e32 0x47600001, v[118:119]
	s_xor_b32 s21, exec_lo, s8
	s_cbranch_execz .LBB0_1072
; %bb.1063:                             ;   in Loop: Header=BB0_681 Depth=2
	v_mov_b32_e32 v46, 0
	s_mov_b32 s22, exec_lo
	v_cmpx_ne_u32_e32 0, v30
	s_cbranch_execz .LBB0_1071
; %bb.1064:                             ;   in Loop: Header=BB0_681 Depth=2
	v_bfe_u32 v30, v30, 23, 8
	v_or_b32_e32 v41, 0x800000, v2
	s_delay_alu instid0(VALU_DEP_2) | instskip(SKIP_1) | instid1(VALU_DEP_2)
	v_sub_nc_u32_e32 v118, 0x71, v30
	v_cmp_gt_u32_e32 vcc_lo, 0x72, v30
	v_cndmask_b32_e32 v118, 0, v118, vcc_lo
	v_cmp_eq_u32_e32 vcc_lo, 0, v30
	s_delay_alu instid0(VALU_DEP_2) | instskip(NEXT) | instid1(VALU_DEP_1)
	v_cndmask_b32_e64 v40, v118, 0x70, vcc_lo
	v_dual_cndmask_b32 v2, v41, v2, vcc_lo :: v_dual_add_nc_u32 v118, 21, v40
	v_add_nc_u32_e32 v46, 20, v40
	s_delay_alu instid0(VALU_DEP_2) | instskip(NEXT) | instid1(VALU_DEP_2)
	v_lshlrev_b64_e64 v[118:119], v118, -1
	v_lshlrev_b64_e64 v[62:63], v46, 1
	s_delay_alu instid0(VALU_DEP_2) | instskip(SKIP_1) | instid1(VALU_DEP_4)
	v_bfi_b32 v118, v118, 0, v2
	v_lshrrev_b64 v[2:3], v40, v[2:3]
	v_bfi_b32 v119, v119, 0, 0
	s_delay_alu instid0(VALU_DEP_1) | instskip(NEXT) | instid1(VALU_DEP_3)
	v_cmp_eq_u64_e64 s8, v[118:119], v[62:63]
	v_mov_b64_e32 v[118:119], v[2:3]
	s_and_saveexec_b32 s23, s8
; %bb.1065:                             ;   in Loop: Header=BB0_681 Depth=2
	v_bfe_u32 v118, v2, 21, 1
	v_mov_b32_e32 v119, v55
	s_delay_alu instid0(VALU_DEP_1) | instskip(NEXT) | instid1(VALU_DEP_1)
	v_add_nc_u64_e32 v[118:119], v[2:3], v[118:119]
	v_add_nc_u64_e32 v[118:119], -1, v[118:119]
; %bb.1066:                             ;   in Loop: Header=BB0_681 Depth=2
	s_or_b32 exec_lo, exec_lo, s23
	v_add_nc_u32_e32 v3, 0xffffff81, v30
	v_lshrrev_b32_e32 v30, 23, v2
	s_mov_b32 s8, exec_lo
	s_delay_alu instid0(VALU_DEP_2) | instskip(NEXT) | instid1(VALU_DEP_1)
	v_cndmask_b32_e64 v3, v3, 0xffffff82, vcc_lo
	v_add3_u32 v119, v40, v3, v30
	v_and_b32_e32 v3, 0x1fffff, v118
                                        ; implicit-def: $vgpr30
	s_delay_alu instid0(VALU_DEP_1) | instskip(SKIP_1) | instid1(VALU_DEP_2)
	v_dual_add_nc_u32 v118, 14, v119 :: v_dual_add_nc_u32 v2, v3, v2
	v_mov_b32_e32 v3, v55
	v_cmpx_ne_u32_e32 0, v118
	s_xor_b32 s8, exec_lo, s8
; %bb.1067:                             ;   in Loop: Header=BB0_681 Depth=2
	s_delay_alu instid0(VALU_DEP_2) | instskip(SKIP_1) | instid1(VALU_DEP_1)
	v_cmp_lt_u64_e32 vcc_lo, 0xffffff, v[2:3]
	v_add_nc_u32_e32 v30, 15, v119
	v_cndmask_b32_e32 v30, v118, v30, vcc_lo
	v_cndmask_b32_e64 v118, 0, 1, vcc_lo
	s_delay_alu instid0(VALU_DEP_1)
	v_lshrrev_b64 v[2:3], v118, v[2:3]
; %bb.1068:                             ;   in Loop: Header=BB0_681 Depth=2
	s_and_not1_saveexec_b32 s8, s8
; %bb.1069:                             ;   in Loop: Header=BB0_681 Depth=2
	s_delay_alu instid0(VALU_DEP_1)
	v_bfe_u32 v30, v2, 23, 1
; %bb.1070:                             ;   in Loop: Header=BB0_681 Depth=2
	s_or_b32 exec_lo, exec_lo, s8
	s_delay_alu instid0(VALU_DEP_2) | instskip(NEXT) | instid1(VALU_DEP_2)
	v_lshrrev_b64 v[2:3], 21, v[2:3]
	v_cmp_gt_i32_e32 vcc_lo, 32, v30
	v_min_i32_e32 v118, 31, v30
	v_cmp_eq_u32_e64 s8, 0, v30
	s_delay_alu instid0(VALU_DEP_2) | instskip(SKIP_1) | instid1(VALU_DEP_2)
	v_dual_cndmask_b32 v3, 0, v3 :: v_dual_lshlrev_b32 v118, 2, v118
	v_cndmask_b32_e32 v2, 3, v2, vcc_lo
	v_and_b32_e32 v118, 0xfc, v118
	s_delay_alu instid0(VALU_DEP_2) | instskip(NEXT) | instid1(VALU_DEP_2)
	v_cmp_eq_u64_e32 vcc_lo, 0, v[2:3]
	v_and_or_b32 v2, v2, 3, v118
	s_and_b32 s8, s8, vcc_lo
	s_delay_alu instid0(VALU_DEP_1) | instid1(SALU_CYCLE_1)
	v_cndmask_b32_e64 v2, v2, 0, s8
	s_delay_alu instid0(VALU_DEP_1)
	v_or_b32_e32 v46, v2, v5
.LBB0_1071:                             ;   in Loop: Header=BB0_681 Depth=2
	s_or_b32 exec_lo, exec_lo, s22
                                        ; implicit-def: $vgpr5
.LBB0_1072:                             ;   in Loop: Header=BB0_681 Depth=2
	s_and_not1_saveexec_b32 s8, s21
; %bb.1073:                             ;   in Loop: Header=BB0_681 Depth=2
	v_or_b32_e32 v46, 0x7b, v5
; %bb.1074:                             ;   in Loop: Header=BB0_681 Depth=2
	s_or_b32 exec_lo, exec_lo, s8
                                        ; implicit-def: $vgpr30
                                        ; implicit-def: $vgpr2_vgpr3
                                        ; implicit-def: $vgpr5
.LBB0_1075:                             ;   in Loop: Header=BB0_681 Depth=2
	s_and_not1_saveexec_b32 s8, s20
	s_cbranch_execz .LBB0_1081
; %bb.1076:                             ;   in Loop: Header=BB0_681 Depth=2
	s_mov_b32 s20, exec_lo
                                        ; implicit-def: $vgpr46
	v_cmpx_ne_u64_e32 0, v[2:3]
	s_xor_b32 s20, exec_lo, s20
; %bb.1077:                             ;   in Loop: Header=BB0_681 Depth=2
	v_or_b32_e32 v46, 0x7f, v5
                                        ; implicit-def: $vgpr30
; %bb.1078:                             ;   in Loop: Header=BB0_681 Depth=2
	s_and_not1_saveexec_b32 s20, s20
; %bb.1079:                             ;   in Loop: Header=BB0_681 Depth=2
	v_cmp_lt_i32_e32 vcc_lo, -1, v30
	v_cndmask_b32_e32 v46, 0xfc, v58, vcc_lo
; %bb.1080:                             ;   in Loop: Header=BB0_681 Depth=2
	s_or_b32 exec_lo, exec_lo, s20
.LBB0_1081:                             ;   in Loop: Header=BB0_681 Depth=2
	s_delay_alu instid0(SALU_CYCLE_1) | instskip(SKIP_1) | instid1(VALU_DEP_1)
	s_or_b32 exec_lo, exec_lo, s8
	v_dual_lshrrev_b32 v30, 16, v4 :: v_dual_lshrrev_b32 v2, 16, v54
                                        ; implicit-def: $vgpr118
	v_and_b32_e32 v119, 0xff, v30
	s_delay_alu instid0(VALU_DEP_1) | instskip(SKIP_1) | instid1(SALU_CYCLE_1)
	v_cmp_ne_u16_e32 vcc_lo, 0, v119
	s_and_saveexec_b32 s8, s6
	s_xor_b32 s20, exec_lo, s8
	s_cbranch_execz .LBB0_1103
; %bb.1082:                             ;   in Loop: Header=BB0_681 Depth=2
	v_dual_mov_b32 v5, 0 :: v_dual_mov_b32 v3, 0
	s_and_saveexec_b32 s21, vcc_lo
	s_cbranch_execz .LBB0_1092
; %bb.1083:                             ;   in Loop: Header=BB0_681 Depth=2
	v_bfrev_b32_e32 v3, 1
	s_mov_b32 s22, exec_lo
	v_cmpx_ne_u16_e32 0x80, v119
	s_cbranch_execz .LBB0_1091
; %bb.1084:                             ;   in Loop: Header=BB0_681 Depth=2
	v_and_b32_e32 v3, 0x7c0000, v4
	v_bfe_u32 v118, v4, 16, 2
	s_delay_alu instid0(VALU_DEP_2) | instskip(SKIP_1) | instid1(SALU_CYCLE_1)
	v_cmp_ne_u32_e64 s8, 0x7c0000, v3
                                        ; implicit-def: $vgpr3
	s_and_saveexec_b32 s23, s8
	s_xor_b32 s23, exec_lo, s23
	s_cbranch_execz .LBB0_1088
; %bb.1085:                             ;   in Loop: Header=BB0_681 Depth=2
	v_bfe_u32 v3, v4, 18, 5
	s_mov_b32 s24, exec_lo
	s_delay_alu instid0(VALU_DEP_1)
	v_cmpx_eq_u32_e32 0, v3
; %bb.1086:                             ;   in Loop: Header=BB0_681 Depth=2
	v_clz_i32_u32_e32 v3, v118
	s_delay_alu instid0(VALU_DEP_1) | instskip(NEXT) | instid1(VALU_DEP_1)
	v_min_u32_e32 v3, 32, v3
	v_subrev_nc_u32_e32 v118, 29, v3
	s_delay_alu instid0(VALU_DEP_1) | instskip(NEXT) | instid1(VALU_DEP_1)
	v_lshlrev_b64_e32 v[118:119], v118, v[30:31]
	v_dual_sub_nc_u32 v3, 30, v3 :: v_dual_bitop2_b32 v118, 3, v118 bitop3:0x40
; %bb.1087:                             ;   in Loop: Header=BB0_681 Depth=2
	s_or_b32 exec_lo, exec_lo, s24
	v_lshlrev_b32_e32 v30, 24, v30
	s_delay_alu instid0(VALU_DEP_1) | instskip(NEXT) | instid1(VALU_DEP_1)
	v_and_b32_e32 v30, 0x80000000, v30
	v_lshl_add_u32 v3, v3, 23, v30
                                        ; implicit-def: $vgpr30
	s_delay_alu instid0(VALU_DEP_1) | instskip(NEXT) | instid1(VALU_DEP_1)
	v_lshl_or_b32 v3, v118, 21, v3
                                        ; implicit-def: $vgpr118
	v_add_nc_u32_e32 v3, 0x38000000, v3
.LBB0_1088:                             ;   in Loop: Header=BB0_681 Depth=2
	s_and_not1_saveexec_b32 s23, s23
; %bb.1089:                             ;   in Loop: Header=BB0_681 Depth=2
	v_bfe_i32 v3, v30, 0, 8
	s_delay_alu instid0(VALU_DEP_1) | instskip(NEXT) | instid1(VALU_DEP_1)
	v_cmp_lt_i16_e64 s8, -1, v3
	v_cndmask_b32_e64 v3, 0xff800000, v21, s8
	v_cmp_eq_u32_e64 s8, 0, v118
	s_delay_alu instid0(VALU_DEP_1)
	v_cndmask_b32_e64 v3, 0x7f800001, v3, s8
; %bb.1090:                             ;   in Loop: Header=BB0_681 Depth=2
	s_or_b32 exec_lo, exec_lo, s23
.LBB0_1091:                             ;   in Loop: Header=BB0_681 Depth=2
	s_delay_alu instid0(SALU_CYCLE_1)
	s_or_b32 exec_lo, exec_lo, s22
.LBB0_1092:                             ;   in Loop: Header=BB0_681 Depth=2
	s_delay_alu instid0(SALU_CYCLE_1) | instskip(SKIP_2) | instid1(VALU_DEP_1)
	s_or_b32 exec_lo, exec_lo, s21
	v_and_b32_e32 v30, 0xff, v2
	s_mov_b32 s21, exec_lo
	v_cmpx_ne_u16_e32 0, v30
	s_cbranch_execz .LBB0_1102
; %bb.1093:                             ;   in Loop: Header=BB0_681 Depth=2
	v_bfrev_b32_e32 v5, 1
	s_mov_b32 s22, exec_lo
	v_cmpx_ne_u16_e32 0x80, v30
	s_cbranch_execz .LBB0_1101
; %bb.1094:                             ;   in Loop: Header=BB0_681 Depth=2
	v_and_b32_e32 v5, 0x7c0000, v54
	v_bfe_u32 v30, v54, 16, 2
	s_delay_alu instid0(VALU_DEP_2) | instskip(SKIP_1) | instid1(SALU_CYCLE_1)
	v_cmp_ne_u32_e64 s8, 0x7c0000, v5
                                        ; implicit-def: $vgpr5
	s_and_saveexec_b32 s23, s8
	s_xor_b32 s23, exec_lo, s23
	s_cbranch_execz .LBB0_1098
; %bb.1095:                             ;   in Loop: Header=BB0_681 Depth=2
	v_bfe_u32 v5, v54, 18, 5
	s_mov_b32 s24, exec_lo
	s_delay_alu instid0(VALU_DEP_1)
	v_cmpx_eq_u32_e32 0, v5
; %bb.1096:                             ;   in Loop: Header=BB0_681 Depth=2
	v_clz_i32_u32_e32 v5, v30
	s_delay_alu instid0(VALU_DEP_1) | instskip(NEXT) | instid1(VALU_DEP_1)
	v_min_u32_e32 v5, 32, v5
	v_subrev_nc_u32_e32 v30, 29, v5
	s_delay_alu instid0(VALU_DEP_1) | instskip(NEXT) | instid1(VALU_DEP_1)
	v_lshlrev_b64_e32 v[118:119], v30, v[2:3]
	v_dual_sub_nc_u32 v5, 30, v5 :: v_dual_bitop2_b32 v30, 3, v118 bitop3:0x40
; %bb.1097:                             ;   in Loop: Header=BB0_681 Depth=2
	s_or_b32 exec_lo, exec_lo, s24
	v_lshlrev_b32_e32 v2, 24, v2
	s_delay_alu instid0(VALU_DEP_1) | instskip(NEXT) | instid1(VALU_DEP_1)
	v_and_b32_e32 v2, 0x80000000, v2
	v_lshl_add_u32 v2, v5, 23, v2
	s_delay_alu instid0(VALU_DEP_1) | instskip(NEXT) | instid1(VALU_DEP_1)
	v_lshl_or_b32 v2, v30, 21, v2
                                        ; implicit-def: $vgpr30
	v_add_nc_u32_e32 v5, 0x38000000, v2
                                        ; implicit-def: $vgpr2
.LBB0_1098:                             ;   in Loop: Header=BB0_681 Depth=2
	s_and_not1_saveexec_b32 s23, s23
; %bb.1099:                             ;   in Loop: Header=BB0_681 Depth=2
	v_bfe_i32 v2, v2, 0, 8
	s_delay_alu instid0(VALU_DEP_1) | instskip(NEXT) | instid1(VALU_DEP_1)
	v_cmp_lt_i16_e64 s8, -1, v2
	v_cndmask_b32_e64 v2, 0xff800000, v21, s8
	v_cmp_eq_u32_e64 s8, 0, v30
	s_delay_alu instid0(VALU_DEP_1)
	v_cndmask_b32_e64 v5, 0x7f800001, v2, s8
; %bb.1100:                             ;   in Loop: Header=BB0_681 Depth=2
	s_or_b32 exec_lo, exec_lo, s23
.LBB0_1101:                             ;   in Loop: Header=BB0_681 Depth=2
	s_delay_alu instid0(SALU_CYCLE_1)
	s_or_b32 exec_lo, exec_lo, s22
.LBB0_1102:                             ;   in Loop: Header=BB0_681 Depth=2
	s_delay_alu instid0(SALU_CYCLE_1) | instskip(NEXT) | instid1(VALU_DEP_1)
	s_or_b32 exec_lo, exec_lo, s21
	v_dual_max_num_f32 v2, v5, v5 :: v_dual_max_num_f32 v3, v3, v3
                                        ; implicit-def: $vgpr119
                                        ; implicit-def: $vgpr30
	s_delay_alu instid0(VALU_DEP_1)
	v_max_num_f32_e32 v118, v3, v2
                                        ; implicit-def: $vgpr2
.LBB0_1103:                             ;   in Loop: Header=BB0_681 Depth=2
	s_and_not1_saveexec_b32 s8, s20
	s_cbranch_execz .LBB0_1125
; %bb.1104:                             ;   in Loop: Header=BB0_681 Depth=2
	v_dual_mov_b32 v5, 0 :: v_dual_mov_b32 v3, 0
	s_and_saveexec_b32 s20, vcc_lo
	s_cbranch_execz .LBB0_1114
; %bb.1105:                             ;   in Loop: Header=BB0_681 Depth=2
	v_bfrev_b32_e32 v3, 1
	s_mov_b32 s21, exec_lo
	v_cmpx_ne_u16_e32 0x80, v119
	s_cbranch_execz .LBB0_1113
; %bb.1106:                             ;   in Loop: Header=BB0_681 Depth=2
	v_and_b32_e32 v3, 0x7c0000, v4
	v_bfe_u32 v118, v4, 16, 2
	s_delay_alu instid0(VALU_DEP_2) | instskip(SKIP_1) | instid1(SALU_CYCLE_1)
	v_cmp_ne_u32_e32 vcc_lo, 0x7c0000, v3
                                        ; implicit-def: $vgpr3
	s_and_saveexec_b32 s22, vcc_lo
	s_xor_b32 s22, exec_lo, s22
	s_cbranch_execz .LBB0_1110
; %bb.1107:                             ;   in Loop: Header=BB0_681 Depth=2
	v_bfe_u32 v3, v4, 18, 5
	s_mov_b32 s23, exec_lo
	s_delay_alu instid0(VALU_DEP_1)
	v_cmpx_eq_u32_e32 0, v3
; %bb.1108:                             ;   in Loop: Header=BB0_681 Depth=2
	v_clz_i32_u32_e32 v3, v118
	s_delay_alu instid0(VALU_DEP_1) | instskip(NEXT) | instid1(VALU_DEP_1)
	v_min_u32_e32 v3, 32, v3
	v_subrev_nc_u32_e32 v118, 29, v3
	s_delay_alu instid0(VALU_DEP_1) | instskip(NEXT) | instid1(VALU_DEP_1)
	v_lshlrev_b64_e32 v[118:119], v118, v[30:31]
	v_dual_sub_nc_u32 v3, 30, v3 :: v_dual_bitop2_b32 v118, 3, v118 bitop3:0x40
; %bb.1109:                             ;   in Loop: Header=BB0_681 Depth=2
	s_or_b32 exec_lo, exec_lo, s23
	v_lshlrev_b32_e32 v30, 24, v30
	s_delay_alu instid0(VALU_DEP_1) | instskip(NEXT) | instid1(VALU_DEP_1)
	v_and_b32_e32 v30, 0x80000000, v30
	v_lshl_add_u32 v3, v3, 23, v30
                                        ; implicit-def: $vgpr30
	s_delay_alu instid0(VALU_DEP_1) | instskip(NEXT) | instid1(VALU_DEP_1)
	v_lshl_or_b32 v3, v118, 21, v3
                                        ; implicit-def: $vgpr118
	v_add_nc_u32_e32 v3, 0x38000000, v3
.LBB0_1110:                             ;   in Loop: Header=BB0_681 Depth=2
	s_and_not1_saveexec_b32 s22, s22
; %bb.1111:                             ;   in Loop: Header=BB0_681 Depth=2
	v_bfe_i32 v3, v30, 0, 8
	s_delay_alu instid0(VALU_DEP_1) | instskip(SKIP_2) | instid1(VALU_DEP_2)
	v_cmp_lt_i16_e32 vcc_lo, -1, v3
	v_cndmask_b32_e32 v3, 0xff800000, v21, vcc_lo
	v_cmp_eq_u32_e32 vcc_lo, 0, v118
	v_cndmask_b32_e32 v3, 0x7f800001, v3, vcc_lo
; %bb.1112:                             ;   in Loop: Header=BB0_681 Depth=2
	s_or_b32 exec_lo, exec_lo, s22
.LBB0_1113:                             ;   in Loop: Header=BB0_681 Depth=2
	s_delay_alu instid0(SALU_CYCLE_1)
	s_or_b32 exec_lo, exec_lo, s21
.LBB0_1114:                             ;   in Loop: Header=BB0_681 Depth=2
	s_delay_alu instid0(SALU_CYCLE_1) | instskip(SKIP_2) | instid1(VALU_DEP_1)
	s_or_b32 exec_lo, exec_lo, s20
	v_and_b32_e32 v30, 0xff, v2
	s_mov_b32 s20, exec_lo
	v_cmpx_ne_u16_e32 0, v30
	s_cbranch_execz .LBB0_1124
; %bb.1115:                             ;   in Loop: Header=BB0_681 Depth=2
	v_bfrev_b32_e32 v5, 1
	s_mov_b32 s21, exec_lo
	v_cmpx_ne_u16_e32 0x80, v30
	s_cbranch_execz .LBB0_1123
; %bb.1116:                             ;   in Loop: Header=BB0_681 Depth=2
	v_and_b32_e32 v5, 0x7c0000, v54
	v_bfe_u32 v30, v54, 16, 2
	s_delay_alu instid0(VALU_DEP_2) | instskip(SKIP_1) | instid1(SALU_CYCLE_1)
	v_cmp_ne_u32_e32 vcc_lo, 0x7c0000, v5
                                        ; implicit-def: $vgpr5
	s_and_saveexec_b32 s22, vcc_lo
	s_xor_b32 s22, exec_lo, s22
	s_cbranch_execz .LBB0_1120
; %bb.1117:                             ;   in Loop: Header=BB0_681 Depth=2
	v_bfe_u32 v5, v54, 18, 5
	s_mov_b32 s23, exec_lo
	s_delay_alu instid0(VALU_DEP_1)
	v_cmpx_eq_u32_e32 0, v5
; %bb.1118:                             ;   in Loop: Header=BB0_681 Depth=2
	v_clz_i32_u32_e32 v5, v30
	s_delay_alu instid0(VALU_DEP_1) | instskip(NEXT) | instid1(VALU_DEP_1)
	v_min_u32_e32 v5, 32, v5
	v_subrev_nc_u32_e32 v30, 29, v5
	s_delay_alu instid0(VALU_DEP_1) | instskip(NEXT) | instid1(VALU_DEP_1)
	v_lshlrev_b64_e32 v[118:119], v30, v[2:3]
	v_dual_sub_nc_u32 v5, 30, v5 :: v_dual_bitop2_b32 v30, 3, v118 bitop3:0x40
; %bb.1119:                             ;   in Loop: Header=BB0_681 Depth=2
	s_or_b32 exec_lo, exec_lo, s23
	v_lshlrev_b32_e32 v2, 24, v2
	s_delay_alu instid0(VALU_DEP_1) | instskip(NEXT) | instid1(VALU_DEP_1)
	v_and_b32_e32 v2, 0x80000000, v2
	v_lshl_add_u32 v2, v5, 23, v2
	s_delay_alu instid0(VALU_DEP_1) | instskip(NEXT) | instid1(VALU_DEP_1)
	v_lshl_or_b32 v2, v30, 21, v2
                                        ; implicit-def: $vgpr30
	v_add_nc_u32_e32 v5, 0x38000000, v2
                                        ; implicit-def: $vgpr2
.LBB0_1120:                             ;   in Loop: Header=BB0_681 Depth=2
	s_and_not1_saveexec_b32 s22, s22
; %bb.1121:                             ;   in Loop: Header=BB0_681 Depth=2
	v_bfe_i32 v2, v2, 0, 8
	s_delay_alu instid0(VALU_DEP_1) | instskip(SKIP_2) | instid1(VALU_DEP_2)
	v_cmp_lt_i16_e32 vcc_lo, -1, v2
	v_cndmask_b32_e32 v2, 0xff800000, v21, vcc_lo
	v_cmp_eq_u32_e32 vcc_lo, 0, v30
	v_cndmask_b32_e32 v5, 0x7f800001, v2, vcc_lo
; %bb.1122:                             ;   in Loop: Header=BB0_681 Depth=2
	s_or_b32 exec_lo, exec_lo, s22
.LBB0_1123:                             ;   in Loop: Header=BB0_681 Depth=2
	s_delay_alu instid0(SALU_CYCLE_1)
	s_or_b32 exec_lo, exec_lo, s21
.LBB0_1124:                             ;   in Loop: Header=BB0_681 Depth=2
	s_delay_alu instid0(SALU_CYCLE_1) | instskip(NEXT) | instid1(VALU_DEP_1)
	s_or_b32 exec_lo, exec_lo, s20
	v_dual_max_num_f32 v2, v5, v5 :: v_dual_max_num_f32 v3, v3, v3
	s_delay_alu instid0(VALU_DEP_1)
	v_min_num_f32_e32 v118, v3, v2
.LBB0_1125:                             ;   in Loop: Header=BB0_681 Depth=2
	s_or_b32 exec_lo, exec_lo, s8
	s_delay_alu instid0(VALU_DEP_1) | instskip(SKIP_4) | instid1(VALU_DEP_3)
	v_and_b32_e32 v40, 0x7f800000, v118
	v_dual_mov_b32 v41, v55 :: v_dual_mov_b32 v3, v55
	v_and_b32_e32 v2, 0x7fffff, v118
	v_lshrrev_b32_e32 v5, 24, v118
                                        ; implicit-def: $vgpr61
	s_mov_b32 s8, exec_lo
	v_cmpx_ne_u64_e32 0x7f800000, v[40:41]
	s_xor_b32 s20, exec_lo, s8
	s_cbranch_execz .LBB0_1139
; %bb.1126:                             ;   in Loop: Header=BB0_681 Depth=2
	v_and_b32_e32 v40, 0x7fffffff, v118
	v_mov_b32_e32 v41, v55
	v_and_b32_e32 v5, 0x80, v5
                                        ; implicit-def: $vgpr61
	s_mov_b32 s8, exec_lo
	s_delay_alu instid0(VALU_DEP_2)
	v_cmpx_gt_u64_e32 0x47600001, v[40:41]
	s_xor_b32 s21, exec_lo, s8
	s_cbranch_execz .LBB0_1136
; %bb.1127:                             ;   in Loop: Header=BB0_681 Depth=2
	v_mov_b32_e32 v61, 0
	s_mov_b32 s22, exec_lo
	v_cmpx_ne_u32_e32 0, v118
	s_cbranch_execz .LBB0_1135
; %bb.1128:                             ;   in Loop: Header=BB0_681 Depth=2
	v_bfe_u32 v30, v118, 23, 8
	v_or_b32_e32 v41, 0x800000, v2
	s_delay_alu instid0(VALU_DEP_2) | instskip(SKIP_1) | instid1(VALU_DEP_2)
	v_sub_nc_u32_e32 v118, 0x71, v30
	v_cmp_gt_u32_e32 vcc_lo, 0x72, v30
	v_cndmask_b32_e32 v118, 0, v118, vcc_lo
	v_cmp_eq_u32_e32 vcc_lo, 0, v30
	s_delay_alu instid0(VALU_DEP_2) | instskip(NEXT) | instid1(VALU_DEP_1)
	v_cndmask_b32_e64 v40, v118, 0x70, vcc_lo
	v_dual_cndmask_b32 v2, v41, v2, vcc_lo :: v_dual_add_nc_u32 v118, 21, v40
	v_add_nc_u32_e32 v61, 20, v40
	s_delay_alu instid0(VALU_DEP_2) | instskip(NEXT) | instid1(VALU_DEP_2)
	v_lshlrev_b64_e64 v[118:119], v118, -1
	v_lshlrev_b64_e64 v[62:63], v61, 1
	s_delay_alu instid0(VALU_DEP_2) | instskip(SKIP_1) | instid1(VALU_DEP_4)
	v_bfi_b32 v118, v118, 0, v2
	v_lshrrev_b64 v[2:3], v40, v[2:3]
	v_bfi_b32 v119, v119, 0, 0
	s_delay_alu instid0(VALU_DEP_1) | instskip(NEXT) | instid1(VALU_DEP_3)
	v_cmp_eq_u64_e64 s8, v[118:119], v[62:63]
	v_mov_b64_e32 v[118:119], v[2:3]
	s_and_saveexec_b32 s23, s8
; %bb.1129:                             ;   in Loop: Header=BB0_681 Depth=2
	v_bfe_u32 v118, v2, 21, 1
	v_mov_b32_e32 v119, v55
	s_delay_alu instid0(VALU_DEP_1) | instskip(NEXT) | instid1(VALU_DEP_1)
	v_add_nc_u64_e32 v[118:119], v[2:3], v[118:119]
	v_add_nc_u64_e32 v[118:119], -1, v[118:119]
; %bb.1130:                             ;   in Loop: Header=BB0_681 Depth=2
	s_or_b32 exec_lo, exec_lo, s23
	v_add_nc_u32_e32 v3, 0xffffff81, v30
	v_lshrrev_b32_e32 v30, 23, v2
	s_mov_b32 s8, exec_lo
	s_delay_alu instid0(VALU_DEP_2) | instskip(NEXT) | instid1(VALU_DEP_1)
	v_cndmask_b32_e64 v3, v3, 0xffffff82, vcc_lo
	v_add3_u32 v119, v40, v3, v30
	v_and_b32_e32 v3, 0x1fffff, v118
                                        ; implicit-def: $vgpr30
	s_delay_alu instid0(VALU_DEP_1) | instskip(SKIP_1) | instid1(VALU_DEP_2)
	v_dual_add_nc_u32 v118, 14, v119 :: v_dual_add_nc_u32 v2, v3, v2
	v_mov_b32_e32 v3, v55
	v_cmpx_ne_u32_e32 0, v118
	s_xor_b32 s8, exec_lo, s8
; %bb.1131:                             ;   in Loop: Header=BB0_681 Depth=2
	s_delay_alu instid0(VALU_DEP_2) | instskip(SKIP_1) | instid1(VALU_DEP_1)
	v_cmp_lt_u64_e32 vcc_lo, 0xffffff, v[2:3]
	v_add_nc_u32_e32 v30, 15, v119
	v_cndmask_b32_e32 v30, v118, v30, vcc_lo
	v_cndmask_b32_e64 v118, 0, 1, vcc_lo
	s_delay_alu instid0(VALU_DEP_1)
	v_lshrrev_b64 v[2:3], v118, v[2:3]
; %bb.1132:                             ;   in Loop: Header=BB0_681 Depth=2
	s_and_not1_saveexec_b32 s8, s8
; %bb.1133:                             ;   in Loop: Header=BB0_681 Depth=2
	s_delay_alu instid0(VALU_DEP_1)
	v_bfe_u32 v30, v2, 23, 1
; %bb.1134:                             ;   in Loop: Header=BB0_681 Depth=2
	s_or_b32 exec_lo, exec_lo, s8
	s_delay_alu instid0(VALU_DEP_2) | instskip(NEXT) | instid1(VALU_DEP_2)
	v_lshrrev_b64 v[2:3], 21, v[2:3]
	v_cmp_gt_i32_e32 vcc_lo, 32, v30
	v_min_i32_e32 v118, 31, v30
	v_cmp_eq_u32_e64 s8, 0, v30
	s_delay_alu instid0(VALU_DEP_2) | instskip(SKIP_1) | instid1(VALU_DEP_2)
	v_dual_cndmask_b32 v3, 0, v3 :: v_dual_lshlrev_b32 v118, 2, v118
	v_cndmask_b32_e32 v2, 3, v2, vcc_lo
	v_and_b32_e32 v118, 0xfc, v118
	s_delay_alu instid0(VALU_DEP_2) | instskip(NEXT) | instid1(VALU_DEP_2)
	v_cmp_eq_u64_e32 vcc_lo, 0, v[2:3]
	v_and_or_b32 v2, v2, 3, v118
	s_and_b32 s8, s8, vcc_lo
	s_delay_alu instid0(VALU_DEP_1) | instid1(SALU_CYCLE_1)
	v_cndmask_b32_e64 v2, v2, 0, s8
	s_delay_alu instid0(VALU_DEP_1)
	v_or_b32_e32 v61, v2, v5
.LBB0_1135:                             ;   in Loop: Header=BB0_681 Depth=2
	s_or_b32 exec_lo, exec_lo, s22
                                        ; implicit-def: $vgpr5
.LBB0_1136:                             ;   in Loop: Header=BB0_681 Depth=2
	s_and_not1_saveexec_b32 s8, s21
; %bb.1137:                             ;   in Loop: Header=BB0_681 Depth=2
	v_or_b32_e32 v61, 0x7b, v5
; %bb.1138:                             ;   in Loop: Header=BB0_681 Depth=2
	s_or_b32 exec_lo, exec_lo, s8
                                        ; implicit-def: $vgpr118
                                        ; implicit-def: $vgpr2_vgpr3
                                        ; implicit-def: $vgpr5
.LBB0_1139:                             ;   in Loop: Header=BB0_681 Depth=2
	s_and_not1_saveexec_b32 s8, s20
	s_cbranch_execz .LBB0_1145
; %bb.1140:                             ;   in Loop: Header=BB0_681 Depth=2
	s_mov_b32 s20, exec_lo
                                        ; implicit-def: $vgpr61
	v_cmpx_ne_u64_e32 0, v[2:3]
	s_xor_b32 s20, exec_lo, s20
; %bb.1141:                             ;   in Loop: Header=BB0_681 Depth=2
	v_or_b32_e32 v61, 0x7f, v5
                                        ; implicit-def: $vgpr118
; %bb.1142:                             ;   in Loop: Header=BB0_681 Depth=2
	s_and_not1_saveexec_b32 s20, s20
; %bb.1143:                             ;   in Loop: Header=BB0_681 Depth=2
	v_cmp_lt_i32_e32 vcc_lo, -1, v118
	v_cndmask_b32_e32 v61, 0xfc, v58, vcc_lo
; %bb.1144:                             ;   in Loop: Header=BB0_681 Depth=2
	s_or_b32 exec_lo, exec_lo, s20
.LBB0_1145:                             ;   in Loop: Header=BB0_681 Depth=2
	s_delay_alu instid0(SALU_CYCLE_1) | instskip(SKIP_3) | instid1(VALU_DEP_3)
	s_or_b32 exec_lo, exec_lo, s8
	v_dual_mov_b32 v40, v55 :: v_dual_mov_b32 v41, v4
	v_dual_lshrrev_b32 v30, 24, v4 :: v_dual_lshrrev_b32 v2, 24, v54
	v_dual_mov_b32 v118, v55 :: v_dual_mov_b32 v119, v54
	v_cmp_lt_u64_e32 vcc_lo, s[12:13], v[40:41]
                                        ; implicit-def: $vgpr3
	s_and_saveexec_b32 s8, s6
	s_delay_alu instid0(SALU_CYCLE_1)
	s_xor_b32 s20, exec_lo, s8
	s_cbranch_execz .LBB0_1167
; %bb.1146:                             ;   in Loop: Header=BB0_681 Depth=2
	v_dual_mov_b32 v5, 0 :: v_dual_mov_b32 v3, 0
	s_and_saveexec_b32 s21, vcc_lo
	s_cbranch_execz .LBB0_1156
; %bb.1147:                             ;   in Loop: Header=BB0_681 Depth=2
	v_bfrev_b32_e32 v3, 1
	s_mov_b32 s22, exec_lo
	v_cmpx_ne_u32_e32 0x80, v30
	s_cbranch_execz .LBB0_1155
; %bb.1148:                             ;   in Loop: Header=BB0_681 Depth=2
	v_and_b32_e32 v3, 0x7c000000, v4
	v_bfe_u32 v62, v4, 24, 2
	s_delay_alu instid0(VALU_DEP_2) | instskip(SKIP_1) | instid1(SALU_CYCLE_1)
	v_cmp_ne_u32_e64 s8, 0x7c000000, v3
                                        ; implicit-def: $vgpr3
	s_and_saveexec_b32 s23, s8
	s_xor_b32 s23, exec_lo, s23
	s_cbranch_execz .LBB0_1152
; %bb.1149:                             ;   in Loop: Header=BB0_681 Depth=2
	v_bfe_u32 v3, v4, 26, 5
	s_mov_b32 s24, exec_lo
	s_delay_alu instid0(VALU_DEP_1)
	v_cmpx_eq_u32_e32 0, v3
; %bb.1150:                             ;   in Loop: Header=BB0_681 Depth=2
	v_clz_i32_u32_e32 v3, v62
	s_delay_alu instid0(VALU_DEP_1) | instskip(NEXT) | instid1(VALU_DEP_1)
	v_min_u32_e32 v3, 32, v3
	v_subrev_nc_u32_e32 v40, 29, v3
	s_delay_alu instid0(VALU_DEP_1) | instskip(NEXT) | instid1(VALU_DEP_1)
	v_lshlrev_b64_e32 v[40:41], v40, v[30:31]
	v_dual_sub_nc_u32 v3, 30, v3 :: v_dual_bitop2_b32 v62, 3, v40 bitop3:0x40
; %bb.1151:                             ;   in Loop: Header=BB0_681 Depth=2
	s_or_b32 exec_lo, exec_lo, s24
	v_and_b32_e32 v4, 0x80000000, v4
                                        ; implicit-def: $vgpr40_vgpr41
	s_delay_alu instid0(VALU_DEP_1) | instskip(NEXT) | instid1(VALU_DEP_1)
	v_lshl_add_u32 v3, v3, 23, v4
	v_lshl_or_b32 v3, v62, 21, v3
                                        ; implicit-def: $vgpr62
	s_delay_alu instid0(VALU_DEP_1)
	v_add_nc_u32_e32 v3, 0x38000000, v3
.LBB0_1152:                             ;   in Loop: Header=BB0_681 Depth=2
	s_and_not1_saveexec_b32 s23, s23
; %bb.1153:                             ;   in Loop: Header=BB0_681 Depth=2
	v_cmp_lt_i64_e64 s8, -1, v[40:41]
	s_delay_alu instid0(VALU_DEP_1) | instskip(SKIP_1) | instid1(VALU_DEP_1)
	v_cndmask_b32_e64 v3, 0xff800000, v21, s8
	v_cmp_eq_u32_e64 s8, 0, v62
	v_cndmask_b32_e64 v3, 0x7f800001, v3, s8
; %bb.1154:                             ;   in Loop: Header=BB0_681 Depth=2
	s_or_b32 exec_lo, exec_lo, s23
.LBB0_1155:                             ;   in Loop: Header=BB0_681 Depth=2
	s_delay_alu instid0(SALU_CYCLE_1)
	s_or_b32 exec_lo, exec_lo, s22
.LBB0_1156:                             ;   in Loop: Header=BB0_681 Depth=2
	s_delay_alu instid0(SALU_CYCLE_1) | instskip(NEXT) | instid1(SALU_CYCLE_1)
	s_or_b32 exec_lo, exec_lo, s21
	s_mov_b32 s21, exec_lo
	v_cmpx_lt_u32_e32 0xffffff, v54
	s_cbranch_execz .LBB0_1166
; %bb.1157:                             ;   in Loop: Header=BB0_681 Depth=2
	v_bfrev_b32_e32 v5, 1
	s_mov_b32 s22, exec_lo
	v_cmpx_ne_u32_e32 0x80, v2
	s_cbranch_execz .LBB0_1165
; %bb.1158:                             ;   in Loop: Header=BB0_681 Depth=2
	v_and_b32_e32 v5, 0x7c000000, v54
	v_bfe_u32 v4, v54, 24, 2
	s_delay_alu instid0(VALU_DEP_2) | instskip(SKIP_1) | instid1(SALU_CYCLE_1)
	v_cmp_ne_u32_e64 s8, 0x7c000000, v5
                                        ; implicit-def: $vgpr5
	s_and_saveexec_b32 s23, s8
	s_xor_b32 s23, exec_lo, s23
	s_cbranch_execz .LBB0_1162
; %bb.1159:                             ;   in Loop: Header=BB0_681 Depth=2
	v_bfe_u32 v5, v54, 26, 5
	s_mov_b32 s24, exec_lo
	s_delay_alu instid0(VALU_DEP_1)
	v_cmpx_eq_u32_e32 0, v5
; %bb.1160:                             ;   in Loop: Header=BB0_681 Depth=2
	v_clz_i32_u32_e32 v4, v4
	s_delay_alu instid0(VALU_DEP_1) | instskip(NEXT) | instid1(VALU_DEP_1)
	v_min_u32_e32 v30, 32, v4
	v_subrev_nc_u32_e32 v4, 29, v30
	s_delay_alu instid0(VALU_DEP_1) | instskip(NEXT) | instid1(VALU_DEP_1)
	v_lshlrev_b64_e32 v[4:5], v4, v[2:3]
	v_dual_sub_nc_u32 v5, 30, v30 :: v_dual_bitop2_b32 v4, 3, v4 bitop3:0x40
; %bb.1161:                             ;   in Loop: Header=BB0_681 Depth=2
	s_or_b32 exec_lo, exec_lo, s24
	v_and_b32_e32 v2, 0x80000000, v54
                                        ; implicit-def: $vgpr118_vgpr119
	s_delay_alu instid0(VALU_DEP_1) | instskip(NEXT) | instid1(VALU_DEP_1)
	v_lshl_add_u32 v2, v5, 23, v2
	v_lshl_or_b32 v2, v4, 21, v2
                                        ; implicit-def: $vgpr4
	s_delay_alu instid0(VALU_DEP_1)
	v_add_nc_u32_e32 v5, 0x38000000, v2
.LBB0_1162:                             ;   in Loop: Header=BB0_681 Depth=2
	s_and_not1_saveexec_b32 s23, s23
; %bb.1163:                             ;   in Loop: Header=BB0_681 Depth=2
	v_cmp_lt_i64_e64 s8, -1, v[118:119]
	s_delay_alu instid0(VALU_DEP_1) | instskip(SKIP_1) | instid1(VALU_DEP_1)
	v_cndmask_b32_e64 v2, 0xff800000, v21, s8
	v_cmp_eq_u32_e64 s8, 0, v4
	v_cndmask_b32_e64 v5, 0x7f800001, v2, s8
; %bb.1164:                             ;   in Loop: Header=BB0_681 Depth=2
	s_or_b32 exec_lo, exec_lo, s23
.LBB0_1165:                             ;   in Loop: Header=BB0_681 Depth=2
	s_delay_alu instid0(SALU_CYCLE_1)
	s_or_b32 exec_lo, exec_lo, s22
.LBB0_1166:                             ;   in Loop: Header=BB0_681 Depth=2
	s_delay_alu instid0(SALU_CYCLE_1) | instskip(NEXT) | instid1(VALU_DEP_1)
	s_or_b32 exec_lo, exec_lo, s21
	v_dual_max_num_f32 v2, v5, v5 :: v_dual_max_num_f32 v3, v3, v3
                                        ; implicit-def: $vgpr30
                                        ; implicit-def: $vgpr118_vgpr119
                                        ; implicit-def: $vgpr40_vgpr41
                                        ; implicit-def: $vgpr4_vgpr5
	s_delay_alu instid0(VALU_DEP_1)
	v_max_num_f32_e32 v3, v3, v2
                                        ; implicit-def: $vgpr2
.LBB0_1167:                             ;   in Loop: Header=BB0_681 Depth=2
	s_and_not1_saveexec_b32 s8, s20
	s_cbranch_execz .LBB0_1189
; %bb.1168:                             ;   in Loop: Header=BB0_681 Depth=2
	v_dual_mov_b32 v5, 0 :: v_dual_mov_b32 v3, 0
	s_and_saveexec_b32 s20, vcc_lo
	s_cbranch_execz .LBB0_1178
; %bb.1169:                             ;   in Loop: Header=BB0_681 Depth=2
	v_bfrev_b32_e32 v3, 1
	s_mov_b32 s21, exec_lo
	v_cmpx_ne_u32_e32 0x80, v30
	s_cbranch_execz .LBB0_1177
; %bb.1170:                             ;   in Loop: Header=BB0_681 Depth=2
	v_and_b32_e32 v3, 0x7c000000, v4
	v_bfe_u32 v62, v4, 24, 2
	s_delay_alu instid0(VALU_DEP_2) | instskip(SKIP_1) | instid1(SALU_CYCLE_1)
	v_cmp_ne_u32_e32 vcc_lo, 0x7c000000, v3
                                        ; implicit-def: $vgpr3
	s_and_saveexec_b32 s22, vcc_lo
	s_xor_b32 s22, exec_lo, s22
	s_cbranch_execz .LBB0_1174
; %bb.1171:                             ;   in Loop: Header=BB0_681 Depth=2
	v_bfe_u32 v3, v4, 26, 5
	s_mov_b32 s23, exec_lo
	s_delay_alu instid0(VALU_DEP_1)
	v_cmpx_eq_u32_e32 0, v3
; %bb.1172:                             ;   in Loop: Header=BB0_681 Depth=2
	v_clz_i32_u32_e32 v3, v62
	s_delay_alu instid0(VALU_DEP_1) | instskip(NEXT) | instid1(VALU_DEP_1)
	v_min_u32_e32 v3, 32, v3
	v_subrev_nc_u32_e32 v40, 29, v3
	s_delay_alu instid0(VALU_DEP_1) | instskip(NEXT) | instid1(VALU_DEP_1)
	v_lshlrev_b64_e32 v[40:41], v40, v[30:31]
	v_dual_sub_nc_u32 v3, 30, v3 :: v_dual_bitop2_b32 v62, 3, v40 bitop3:0x40
; %bb.1173:                             ;   in Loop: Header=BB0_681 Depth=2
	s_or_b32 exec_lo, exec_lo, s23
	v_and_b32_e32 v4, 0x80000000, v4
                                        ; implicit-def: $vgpr40_vgpr41
	s_delay_alu instid0(VALU_DEP_1) | instskip(NEXT) | instid1(VALU_DEP_1)
	v_lshl_add_u32 v3, v3, 23, v4
	v_lshl_or_b32 v3, v62, 21, v3
                                        ; implicit-def: $vgpr62
	s_delay_alu instid0(VALU_DEP_1)
	v_add_nc_u32_e32 v3, 0x38000000, v3
.LBB0_1174:                             ;   in Loop: Header=BB0_681 Depth=2
	s_and_not1_saveexec_b32 s22, s22
; %bb.1175:                             ;   in Loop: Header=BB0_681 Depth=2
	v_cmp_lt_i64_e32 vcc_lo, -1, v[40:41]
	v_cndmask_b32_e32 v3, 0xff800000, v21, vcc_lo
	v_cmp_eq_u32_e32 vcc_lo, 0, v62
	s_delay_alu instid0(VALU_DEP_2)
	v_cndmask_b32_e32 v3, 0x7f800001, v3, vcc_lo
; %bb.1176:                             ;   in Loop: Header=BB0_681 Depth=2
	s_or_b32 exec_lo, exec_lo, s22
.LBB0_1177:                             ;   in Loop: Header=BB0_681 Depth=2
	s_delay_alu instid0(SALU_CYCLE_1)
	s_or_b32 exec_lo, exec_lo, s21
.LBB0_1178:                             ;   in Loop: Header=BB0_681 Depth=2
	s_delay_alu instid0(SALU_CYCLE_1) | instskip(NEXT) | instid1(SALU_CYCLE_1)
	s_or_b32 exec_lo, exec_lo, s20
	s_mov_b32 s20, exec_lo
	v_cmpx_lt_u32_e32 0xffffff, v54
	s_cbranch_execz .LBB0_1188
; %bb.1179:                             ;   in Loop: Header=BB0_681 Depth=2
	v_bfrev_b32_e32 v5, 1
	s_mov_b32 s21, exec_lo
	v_cmpx_ne_u32_e32 0x80, v2
	s_cbranch_execz .LBB0_1187
; %bb.1180:                             ;   in Loop: Header=BB0_681 Depth=2
	v_and_b32_e32 v5, 0x7c000000, v54
	v_bfe_u32 v4, v54, 24, 2
	s_delay_alu instid0(VALU_DEP_2) | instskip(SKIP_1) | instid1(SALU_CYCLE_1)
	v_cmp_ne_u32_e32 vcc_lo, 0x7c000000, v5
                                        ; implicit-def: $vgpr5
	s_and_saveexec_b32 s22, vcc_lo
	s_xor_b32 s22, exec_lo, s22
	s_cbranch_execz .LBB0_1184
; %bb.1181:                             ;   in Loop: Header=BB0_681 Depth=2
	v_bfe_u32 v5, v54, 26, 5
	s_mov_b32 s23, exec_lo
	s_delay_alu instid0(VALU_DEP_1)
	v_cmpx_eq_u32_e32 0, v5
; %bb.1182:                             ;   in Loop: Header=BB0_681 Depth=2
	v_clz_i32_u32_e32 v4, v4
	s_delay_alu instid0(VALU_DEP_1) | instskip(NEXT) | instid1(VALU_DEP_1)
	v_min_u32_e32 v30, 32, v4
	v_subrev_nc_u32_e32 v4, 29, v30
	s_delay_alu instid0(VALU_DEP_1) | instskip(NEXT) | instid1(VALU_DEP_1)
	v_lshlrev_b64_e32 v[4:5], v4, v[2:3]
	v_dual_sub_nc_u32 v5, 30, v30 :: v_dual_bitop2_b32 v4, 3, v4 bitop3:0x40
; %bb.1183:                             ;   in Loop: Header=BB0_681 Depth=2
	s_or_b32 exec_lo, exec_lo, s23
	v_and_b32_e32 v2, 0x80000000, v54
                                        ; implicit-def: $vgpr118_vgpr119
	s_delay_alu instid0(VALU_DEP_1) | instskip(NEXT) | instid1(VALU_DEP_1)
	v_lshl_add_u32 v2, v5, 23, v2
	v_lshl_or_b32 v2, v4, 21, v2
                                        ; implicit-def: $vgpr4
	s_delay_alu instid0(VALU_DEP_1)
	v_add_nc_u32_e32 v5, 0x38000000, v2
.LBB0_1184:                             ;   in Loop: Header=BB0_681 Depth=2
	s_and_not1_saveexec_b32 s22, s22
; %bb.1185:                             ;   in Loop: Header=BB0_681 Depth=2
	v_cmp_lt_i64_e32 vcc_lo, -1, v[118:119]
	v_cndmask_b32_e32 v2, 0xff800000, v21, vcc_lo
	v_cmp_eq_u32_e32 vcc_lo, 0, v4
	s_delay_alu instid0(VALU_DEP_2)
	v_cndmask_b32_e32 v5, 0x7f800001, v2, vcc_lo
; %bb.1186:                             ;   in Loop: Header=BB0_681 Depth=2
	s_or_b32 exec_lo, exec_lo, s22
.LBB0_1187:                             ;   in Loop: Header=BB0_681 Depth=2
	s_delay_alu instid0(SALU_CYCLE_1)
	s_or_b32 exec_lo, exec_lo, s21
.LBB0_1188:                             ;   in Loop: Header=BB0_681 Depth=2
	s_delay_alu instid0(SALU_CYCLE_1) | instskip(NEXT) | instid1(VALU_DEP_1)
	s_or_b32 exec_lo, exec_lo, s20
	v_dual_max_num_f32 v2, v5, v5 :: v_dual_max_num_f32 v3, v3, v3
	s_delay_alu instid0(VALU_DEP_1)
	v_min_num_f32_e32 v3, v3, v2
.LBB0_1189:                             ;   in Loop: Header=BB0_681 Depth=2
	s_or_b32 exec_lo, exec_lo, s8
	s_delay_alu instid0(VALU_DEP_1) | instskip(SKIP_2) | instid1(VALU_DEP_2)
	v_and_b32_e32 v4, 0x7f800000, v3
	v_mov_b32_e32 v5, v55
	v_and_b32_e32 v54, 0x7fffff, v3
                                        ; implicit-def: $vgpr2
	v_cmp_ne_u64_e32 vcc_lo, 0x7f800000, v[4:5]
	v_lshrrev_b32_e32 v4, 24, v3
	s_and_saveexec_b32 s8, vcc_lo
	s_delay_alu instid0(SALU_CYCLE_1)
	s_xor_b32 s20, exec_lo, s8
	s_cbranch_execz .LBB0_1203
; %bb.1190:                             ;   in Loop: Header=BB0_681 Depth=2
	v_and_b32_e32 v118, 0x7fffffff, v3
	v_mov_b32_e32 v119, v55
	v_and_b32_e32 v30, 0x80, v4
                                        ; implicit-def: $vgpr2
	s_mov_b32 s8, exec_lo
	s_delay_alu instid0(VALU_DEP_2)
	v_cmpx_gt_u64_e32 0x47600001, v[118:119]
	s_xor_b32 s21, exec_lo, s8
	s_cbranch_execz .LBB0_1200
; %bb.1191:                             ;   in Loop: Header=BB0_681 Depth=2
	v_mov_b32_e32 v2, 0
	s_mov_b32 s22, exec_lo
	v_cmpx_ne_u32_e32 0, v3
	s_cbranch_execz .LBB0_1199
; %bb.1192:                             ;   in Loop: Header=BB0_681 Depth=2
	v_bfe_u32 v118, v3, 23, 8
	v_or_b32_e32 v4, 0x800000, v54
	s_delay_alu instid0(VALU_DEP_2) | instskip(SKIP_1) | instid1(VALU_DEP_2)
	v_sub_nc_u32_e32 v2, 0x71, v118
	v_cmp_gt_u32_e32 vcc_lo, 0x72, v118
	v_cndmask_b32_e32 v2, 0, v2, vcc_lo
	v_cmp_eq_u32_e32 vcc_lo, 0, v118
	s_delay_alu instid0(VALU_DEP_2) | instskip(NEXT) | instid1(VALU_DEP_1)
	v_cndmask_b32_e64 v119, v2, 0x70, vcc_lo
	v_dual_cndmask_b32 v54, v4, v54, vcc_lo :: v_dual_add_nc_u32 v2, 21, v119
	v_add_nc_u32_e32 v5, 20, v119
	s_delay_alu instid0(VALU_DEP_2) | instskip(NEXT) | instid1(VALU_DEP_2)
	v_lshlrev_b64_e64 v[2:3], v2, -1
	v_lshlrev_b64_e64 v[4:5], v5, 1
	s_delay_alu instid0(VALU_DEP_2) | instskip(NEXT) | instid1(VALU_DEP_3)
	v_bfi_b32 v41, v3, 0, 0
	v_bfi_b32 v40, v2, 0, v54
	v_lshrrev_b64 v[2:3], v119, v[54:55]
	s_delay_alu instid0(VALU_DEP_2) | instskip(NEXT) | instid1(VALU_DEP_2)
	v_cmp_eq_u64_e64 s8, v[40:41], v[4:5]
	v_mov_b64_e32 v[4:5], v[2:3]
	s_and_saveexec_b32 s23, s8
; %bb.1193:                             ;   in Loop: Header=BB0_681 Depth=2
	v_bfe_u32 v54, v2, 21, 1
	s_delay_alu instid0(VALU_DEP_1) | instskip(NEXT) | instid1(VALU_DEP_1)
	v_add_nc_u64_e32 v[4:5], v[2:3], v[54:55]
	v_add_nc_u64_e32 v[4:5], -1, v[4:5]
; %bb.1194:                             ;   in Loop: Header=BB0_681 Depth=2
	s_or_b32 exec_lo, exec_lo, s23
	v_add_nc_u32_e32 v3, 0xffffff81, v118
	v_lshrrev_b32_e32 v5, 23, v2
	s_mov_b32 s8, exec_lo
	s_delay_alu instid0(VALU_DEP_2) | instskip(NEXT) | instid1(VALU_DEP_1)
	v_cndmask_b32_e64 v3, v3, 0xffffff82, vcc_lo
	v_add3_u32 v5, v119, v3, v5
	v_and_b32_e32 v3, 0x1fffff, v4
                                        ; implicit-def: $vgpr4
	s_delay_alu instid0(VALU_DEP_1) | instskip(NEXT) | instid1(VALU_DEP_1)
	v_dual_add_nc_u32 v118, 14, v5 :: v_dual_add_nc_u32 v54, v3, v2
                                        ; implicit-def: $vgpr2_vgpr3
	v_cmpx_ne_u32_e32 0, v118
	s_xor_b32 s8, exec_lo, s8
; %bb.1195:                             ;   in Loop: Header=BB0_681 Depth=2
	s_delay_alu instid0(VALU_DEP_2) | instskip(SKIP_1) | instid1(VALU_DEP_1)
	v_cmp_lt_u64_e32 vcc_lo, 0xffffff, v[54:55]
	v_add_nc_u32_e32 v2, 15, v5
	v_cndmask_b32_e32 v4, v118, v2, vcc_lo
	v_cndmask_b32_e64 v2, 0, 1, vcc_lo
	s_delay_alu instid0(VALU_DEP_1)
	v_lshrrev_b64 v[2:3], v2, v[54:55]
; %bb.1196:                             ;   in Loop: Header=BB0_681 Depth=2
	s_and_not1_saveexec_b32 s8, s8
; %bb.1197:                             ;   in Loop: Header=BB0_681 Depth=2
	v_mov_b64_e32 v[2:3], v[54:55]
	v_bfe_u32 v4, v54, 23, 1
; %bb.1198:                             ;   in Loop: Header=BB0_681 Depth=2
	s_or_b32 exec_lo, exec_lo, s8
	s_delay_alu instid0(VALU_DEP_2) | instskip(NEXT) | instid1(VALU_DEP_2)
	v_lshrrev_b64 v[2:3], 21, v[2:3]
	v_cmp_gt_i32_e32 vcc_lo, 32, v4
	v_min_i32_e32 v5, 31, v4
	v_cmp_eq_u32_e64 s8, 0, v4
	s_delay_alu instid0(VALU_DEP_2) | instskip(SKIP_1) | instid1(VALU_DEP_2)
	v_dual_cndmask_b32 v3, 0, v3, vcc_lo :: v_dual_lshlrev_b32 v5, 2, v5
	v_cndmask_b32_e32 v2, 3, v2, vcc_lo
	v_and_b32_e32 v5, 0xfc, v5
	s_delay_alu instid0(VALU_DEP_2) | instskip(NEXT) | instid1(VALU_DEP_2)
	v_cmp_eq_u64_e32 vcc_lo, 0, v[2:3]
	v_and_or_b32 v2, v2, 3, v5
	s_and_b32 s8, s8, vcc_lo
	s_delay_alu instid0(VALU_DEP_1) | instid1(SALU_CYCLE_1)
	v_cndmask_b32_e64 v2, v2, 0, s8
	s_delay_alu instid0(VALU_DEP_1)
	v_or_b32_e32 v2, v2, v30
.LBB0_1199:                             ;   in Loop: Header=BB0_681 Depth=2
	s_or_b32 exec_lo, exec_lo, s22
                                        ; implicit-def: $vgpr30
.LBB0_1200:                             ;   in Loop: Header=BB0_681 Depth=2
	s_and_not1_saveexec_b32 s8, s21
; %bb.1201:                             ;   in Loop: Header=BB0_681 Depth=2
	v_or_b32_e32 v2, 0x7b, v30
; %bb.1202:                             ;   in Loop: Header=BB0_681 Depth=2
	s_or_b32 exec_lo, exec_lo, s8
                                        ; implicit-def: $vgpr3
                                        ; implicit-def: $vgpr4
.LBB0_1203:                             ;   in Loop: Header=BB0_681 Depth=2
	s_and_not1_saveexec_b32 s8, s20
	s_cbranch_execz .LBB0_1209
; %bb.1204:                             ;   in Loop: Header=BB0_681 Depth=2
	s_mov_b32 s20, exec_lo
                                        ; implicit-def: $vgpr2
	v_cmpx_ne_u64_e32 0, v[54:55]
	s_xor_b32 s20, exec_lo, s20
; %bb.1205:                             ;   in Loop: Header=BB0_681 Depth=2
	v_or_b32_e32 v2, 0x7f, v4
                                        ; implicit-def: $vgpr3
; %bb.1206:                             ;   in Loop: Header=BB0_681 Depth=2
	s_and_not1_saveexec_b32 s20, s20
; %bb.1207:                             ;   in Loop: Header=BB0_681 Depth=2
	v_cmp_lt_i32_e32 vcc_lo, -1, v3
	v_cndmask_b32_e32 v2, 0xfc, v58, vcc_lo
; %bb.1208:                             ;   in Loop: Header=BB0_681 Depth=2
	s_or_b32 exec_lo, exec_lo, s20
.LBB0_1209:                             ;   in Loop: Header=BB0_681 Depth=2
	s_delay_alu instid0(SALU_CYCLE_1) | instskip(SKIP_1) | instid1(VALU_DEP_2)
	s_or_b32 exec_lo, exec_lo, s8
	v_dual_lshlrev_b32 v3, 16, v44 :: v_dual_lshlrev_b32 v4, 16, v61
	v_dual_lshlrev_b32 v5, 24, v47 :: v_dual_lshlrev_b32 v30, 24, v2
	v_cmp_lt_u32_e32 vcc_lo, 7, v60
	s_delay_alu instid0(VALU_DEP_3) | instskip(NEXT) | instid1(VALU_DEP_4)
	v_lshl_or_b32 v2, v43, 8, v3
	v_lshl_or_b32 v3, v46, 8, v4
	s_mov_b32 s8, -1
	s_cmp_lg_u32 vcc_lo, exec_lo
	s_delay_alu instid0(VALU_DEP_2) | instskip(NEXT) | instid1(VALU_DEP_2)
	v_or3_b32 v2, v2, v5, v117
	v_or3_b32 v3, v3, v30, v45
	s_cbranch_scc0 .LBB0_1225
; %bb.1210:                             ;   in Loop: Header=BB0_681 Depth=2
	s_mov_b32 s20, exec_lo
	flat_store_b8 v[18:19], v117
	s_wait_xcnt 0x0
	v_cmpx_ne_u32_e32 1, v60
	s_cbranch_execz .LBB0_1212
; %bb.1211:                             ;   in Loop: Header=BB0_681 Depth=2
	v_lshrrev_b32_e32 v4, 8, v2
	flat_store_b8 v[18:19], v4 offset:1
.LBB0_1212:                             ;   in Loop: Header=BB0_681 Depth=2
	s_wait_xcnt 0x0
	s_or_b32 exec_lo, exec_lo, s20
	s_delay_alu instid0(SALU_CYCLE_1)
	s_mov_b32 s20, exec_lo
	v_cmpx_lt_u32_e32 2, v60
	s_cbranch_execz .LBB0_1214
; %bb.1213:                             ;   in Loop: Header=BB0_681 Depth=2
	flat_store_d16_hi_b8 v[18:19], v2 offset:2
.LBB0_1214:                             ;   in Loop: Header=BB0_681 Depth=2
	s_wait_xcnt 0x0
	s_or_b32 exec_lo, exec_lo, s20
	s_delay_alu instid0(SALU_CYCLE_1)
	s_mov_b32 s20, exec_lo
	v_cmpx_lt_u32_e32 3, v60
	s_cbranch_execz .LBB0_1216
; %bb.1215:                             ;   in Loop: Header=BB0_681 Depth=2
	v_lshrrev_b32_e32 v4, 24, v2
	flat_store_b8 v[18:19], v4 offset:3
.LBB0_1216:                             ;   in Loop: Header=BB0_681 Depth=2
	s_wait_xcnt 0x0
	s_or_b32 exec_lo, exec_lo, s20
	s_delay_alu instid0(SALU_CYCLE_1)
	s_mov_b32 s20, exec_lo
	v_cmpx_lt_u32_e32 4, v60
	s_cbranch_execz .LBB0_1218
; %bb.1217:                             ;   in Loop: Header=BB0_681 Depth=2
	flat_store_b8 v[18:19], v45 offset:4
.LBB0_1218:                             ;   in Loop: Header=BB0_681 Depth=2
	s_wait_xcnt 0x0
	s_or_b32 exec_lo, exec_lo, s20
	s_delay_alu instid0(SALU_CYCLE_1)
	s_mov_b32 s20, exec_lo
	v_cmpx_lt_u32_e32 5, v60
	s_cbranch_execz .LBB0_1220
; %bb.1219:                             ;   in Loop: Header=BB0_681 Depth=2
	v_lshrrev_b32_e32 v4, 8, v3
	flat_store_b8 v[18:19], v4 offset:5
.LBB0_1220:                             ;   in Loop: Header=BB0_681 Depth=2
	s_wait_xcnt 0x0
	s_or_b32 exec_lo, exec_lo, s20
	s_delay_alu instid0(SALU_CYCLE_1)
	s_mov_b32 s20, exec_lo
	v_cmpx_lt_u32_e32 6, v60
	s_cbranch_execz .LBB0_1222
; %bb.1221:                             ;   in Loop: Header=BB0_681 Depth=2
	flat_store_d16_hi_b8 v[18:19], v3 offset:6
.LBB0_1222:                             ;   in Loop: Header=BB0_681 Depth=2
	s_wait_xcnt 0x0
	s_or_b32 exec_lo, exec_lo, s20
	s_and_saveexec_b32 s8, vcc_lo
	s_cbranch_execz .LBB0_1224
; %bb.1223:                             ;   in Loop: Header=BB0_681 Depth=2
	v_lshrrev_b32_e32 v4, 24, v3
	flat_store_b8 v[18:19], v4 offset:7
.LBB0_1224:                             ;   in Loop: Header=BB0_681 Depth=2
	s_wait_xcnt 0x0
	s_or_b32 exec_lo, exec_lo, s8
	s_mov_b32 s8, 0
.LBB0_1225:                             ;   in Loop: Header=BB0_681 Depth=2
	s_delay_alu instid0(SALU_CYCLE_1)
	s_and_b32 vcc_lo, exec_lo, s8
	s_cbranch_vccz .LBB0_680
; %bb.1226:                             ;   in Loop: Header=BB0_681 Depth=2
	global_store_b64 v[18:19], v[2:3], off
	s_branch .LBB0_680
.LBB0_1227:                             ;   in Loop: Header=BB0_36 Depth=1
	s_or_b32 exec_lo, exec_lo, s19
	s_delay_alu instid0(SALU_CYCLE_1)
	s_or_b32 exec_lo, exec_lo, s9
	s_and_saveexec_b32 s8, s3
	s_cbranch_execz .LBB0_678
.LBB0_1228:                             ;   in Loop: Header=BB0_36 Depth=1
	s_and_saveexec_b32 s9, s4
	s_delay_alu instid0(SALU_CYCLE_1)
	s_xor_b32 s9, exec_lo, s9
	s_cbranch_execz .LBB0_1243
; %bb.1229:                             ;   in Loop: Header=BB0_36 Depth=1
	s_and_saveexec_b32 s19, s5
	s_cbranch_execz .LBB0_1242
; %bb.1230:                             ;   in Loop: Header=BB0_36 Depth=1
	s_mov_b32 s21, exec_lo
	s_mov_b32 s20, exec_lo
	v_mbcnt_lo_u32_b32 v2, s21, 0
	global_wb scope:SCOPE_DEV
	s_wait_storecnt 0x0
	s_wait_loadcnt_dscnt 0x0
	global_inv scope:SCOPE_DEV
	v_cmpx_eq_u32_e32 0, v2
	s_cbranch_execz .LBB0_1232
; %bb.1231:                             ;   in Loop: Header=BB0_36 Depth=1
	s_bcnt1_i32_b32 s21, s21
	s_delay_alu instid0(SALU_CYCLE_1)
	v_mov_b32_e32 v54, s21
	s_wait_loadcnt 0x0
	ds_add_u64 v0, v[54:55]
	s_trap 2
.LBB0_1232:                             ;   in Loop: Header=BB0_36 Depth=1
	s_or_b32 exec_lo, exec_lo, s20
	s_trap 2
	ds_load_b64 v[2:3], v0
	s_wait_dscnt 0x0
	v_add_nc_u64_e32 v[52:53], v[52:53], v[82:83]
	s_mov_b32 s20, exec_lo
	s_delay_alu instid0(VALU_DEP_1)
	v_cmpx_lt_u64_e64 v[2:3], v[52:53]
	s_cbranch_execz .LBB0_1241
; %bb.1233:                             ;   in Loop: Header=BB0_36 Depth=1
	s_mov_b32 s21, 0
	s_mov_b32 s24, 0
                                        ; implicit-def: $sgpr22
                                        ; implicit-def: $sgpr23
	s_branch .LBB0_1235
.LBB0_1234:                             ;   in Loop: Header=BB0_1235 Depth=2
	s_or_b32 exec_lo, exec_lo, s26
	s_delay_alu instid0(SALU_CYCLE_1) | instskip(NEXT) | instid1(SALU_CYCLE_1)
	s_and_b32 s25, exec_lo, s27
	s_or_b32 s21, s25, s21
	s_and_not1_b32 s22, s22, exec_lo
	s_and_b32 s25, s23, exec_lo
	s_delay_alu instid0(SALU_CYCLE_1)
	s_or_b32 s22, s22, s25
	s_and_not1_b32 exec_lo, exec_lo, s21
	s_cbranch_execz .LBB0_1239
.LBB0_1235:                             ;   Parent Loop BB0_36 Depth=1
                                        ; =>  This Inner Loop Header: Depth=2
	s_add_co_i32 s24, s24, 1
	s_delay_alu instid0(SALU_CYCLE_1) | instskip(SKIP_1) | instid1(SALU_CYCLE_1)
	s_cmp_lg_u32 s24, 0x2710
	s_cselect_b32 s25, -1, 0
	s_and_b32 vcc_lo, exec_lo, s25
	s_cbranch_vccz .LBB0_1237
; %bb.1236:                             ;   in Loop: Header=BB0_1235 Depth=2
	s_mov_b32 s27, -1
	s_or_b32 s23, s23, exec_lo
	s_and_saveexec_b32 s26, s25
	s_cbranch_execz .LBB0_1234
	s_branch .LBB0_1238
.LBB0_1237:                             ;   in Loop: Header=BB0_1235 Depth=2
	s_trap 2
	ds_load_b64 v[2:3], v0
	s_and_not1_b32 s25, s25, exec_lo
	s_mov_b32 s24, 0
	s_wait_loadcnt_dscnt 0x0
	flat_load_b32 v2, v[2:3] scope:SCOPE_SYS
	s_wait_loadcnt_dscnt 0x0
	global_inv scope:SCOPE_SYS
	v_cmp_eq_u32_e32 vcc_lo, 0, v2
	s_and_b32 s26, vcc_lo, exec_lo
	s_delay_alu instid0(SALU_CYCLE_1)
	s_or_b32 s25, s25, s26
	s_mov_b32 s27, -1
	s_or_b32 s23, s23, exec_lo
	s_and_saveexec_b32 s26, s25
	s_cbranch_execz .LBB0_1234
.LBB0_1238:                             ;   in Loop: Header=BB0_1235 Depth=2
	s_sleep 1
	s_trap 2
	ds_load_b64 v[2:3], v0
	s_wait_dscnt 0x0
	s_and_not1_b32 s23, s23, exec_lo
	v_cmp_ge_u64_e32 vcc_lo, v[2:3], v[52:53]
	s_or_not1_b32 s27, vcc_lo, exec_lo
	s_branch .LBB0_1234
.LBB0_1239:                             ;   in Loop: Header=BB0_36 Depth=1
	s_or_b32 exec_lo, exec_lo, s21
	s_and_saveexec_b32 s21, s22
	s_delay_alu instid0(SALU_CYCLE_1)
	s_xor_b32 s21, exec_lo, s21
	s_cbranch_execz .LBB0_1241
; %bb.1240:                             ;   in Loop: Header=BB0_36 Depth=1
	ds_store_b32 v0, v1
	s_trap 2
.LBB0_1241:                             ;   in Loop: Header=BB0_36 Depth=1
	s_or_b32 exec_lo, exec_lo, s20
	;;#ASMSTART
	s_wakeup
	;;#ASMEND
.LBB0_1242:                             ;   in Loop: Header=BB0_36 Depth=1
	s_or_b32 exec_lo, exec_lo, s19
.LBB0_1243:                             ;   in Loop: Header=BB0_36 Depth=1
	s_and_not1_saveexec_b32 s9, s9
	s_cbranch_execz .LBB0_1245
; %bb.1244:                             ;   in Loop: Header=BB0_36 Depth=1
	global_wb scope:SCOPE_DEV
	s_wait_storecnt 0x0
	s_wait_loadcnt_dscnt 0x0
	global_inv scope:SCOPE_DEV
	s_barrier_signal -1
	s_barrier_wait -1
.LBB0_1245:                             ;   in Loop: Header=BB0_36 Depth=1
	s_or_b32 exec_lo, exec_lo, s9
	s_delay_alu instid0(SALU_CYCLE_1)
	s_or_b32 exec_lo, exec_lo, s8
	s_and_saveexec_b32 s8, s7
	s_cbranch_execz .LBB0_35
.LBB0_1246:                             ;   in Loop: Header=BB0_36 Depth=1
	v_add_nc_u64_e32 v[38:39], 1, v[38:39]
	global_wb scope:SCOPE_SYS
	s_wait_storecnt 0x0
	s_wait_loadcnt_dscnt 0x0
	flat_store_b64 v[48:49], v[38:39] scope:SCOPE_SYS
	s_branch .LBB0_35
.LBB0_1247:
	s_or_b32 exec_lo, exec_lo, s17
	s_delay_alu instid0(SALU_CYCLE_1)
	s_or_b32 exec_lo, exec_lo, s15
	s_and_saveexec_b32 s1, s14
	s_cbranch_execz .LBB0_20
.LBB0_1248:
	s_wait_dscnt 0x0
	flat_store_b64 v[28:29], v[38:39] offset:104
	s_wait_xcnt 0x0
	s_or_b32 exec_lo, exec_lo, s1
	s_and_saveexec_b32 s1, s0
	s_cbranch_execnz .LBB0_21
	s_branch .LBB0_22
.LBB0_1249:
	s_or_b32 exec_lo, exec_lo, s4
	s_and_saveexec_b32 s4, s5
	s_delay_alu instid0(SALU_CYCLE_1)
	s_xor_b32 s4, exec_lo, s4
	s_cbranch_execz .LBB0_1251
; %bb.1250:
	v_mov_b32_e32 v0, 1
	ds_store_b32 v0, v0
	s_trap 2
.LBB0_1251:
	s_or_b32 exec_lo, exec_lo, s3
	;;#ASMSTART
	s_wakeup
	;;#ASMEND
.LBB0_1252:
	s_or_b32 exec_lo, exec_lo, s2
.LBB0_1253:
	s_and_not1_saveexec_b32 s1, s1
	s_cbranch_execz .LBB0_1255
; %bb.1254:
	global_wb scope:SCOPE_DEV
	s_wait_storecnt 0x0
	s_wait_loadcnt_dscnt 0x0
	global_inv scope:SCOPE_DEV
	s_barrier_signal -1
	s_barrier_wait -1
.LBB0_1255:
	s_or_b32 exec_lo, exec_lo, s0
	s_clause 0x17
	scratch_load_b32 v79, off, s32
	scratch_load_b32 v78, off, s32 offset:4
	scratch_load_b32 v77, off, s32 offset:8
	scratch_load_b32 v76, off, s32 offset:12
	scratch_load_b32 v75, off, s32 offset:16
	scratch_load_b32 v74, off, s32 offset:20
	scratch_load_b32 v73, off, s32 offset:24
	scratch_load_b32 v72, off, s32 offset:28
	scratch_load_b32 v63, off, s32 offset:32
	scratch_load_b32 v62, off, s32 offset:36
	scratch_load_b32 v61, off, s32 offset:40
	scratch_load_b32 v60, off, s32 offset:44
	scratch_load_b32 v59, off, s32 offset:48
	scratch_load_b32 v58, off, s32 offset:52
	scratch_load_b32 v57, off, s32 offset:56
	scratch_load_b32 v56, off, s32 offset:60
	scratch_load_b32 v47, off, s32 offset:64
	scratch_load_b32 v46, off, s32 offset:68
	scratch_load_b32 v45, off, s32 offset:72
	scratch_load_b32 v44, off, s32 offset:76
	scratch_load_b32 v43, off, s32 offset:80
	scratch_load_b32 v42, off, s32 offset:84
	scratch_load_b32 v41, off, s32 offset:88
	scratch_load_b32 v40, off, s32 offset:92
	s_wait_loadcnt_dscnt 0x0
	s_set_pc_i64 s[30:31]
.Lfunc_end0:
	.size	_ZN12_GLOBAL__N_17runRingI14__hip_fp8_e5m210FuncMinMaxIS1_E7ProtoLLLi0ELi1ELi0EEEviiP15ncclDevWorkColl, .Lfunc_end0-_ZN12_GLOBAL__N_17runRingI14__hip_fp8_e5m210FuncMinMaxIS1_E7ProtoLLLi0ELi1ELi0EEEviiP15ncclDevWorkColl
                                        ; -- End function
	.set .L_ZN12_GLOBAL__N_17runRingI14__hip_fp8_e5m210FuncMinMaxIS1_E7ProtoLLLi0ELi1ELi0EEEviiP15ncclDevWorkColl.num_vgpr, 120
	.set .L_ZN12_GLOBAL__N_17runRingI14__hip_fp8_e5m210FuncMinMaxIS1_E7ProtoLLLi0ELi1ELi0EEEviiP15ncclDevWorkColl.num_agpr, 0
	.set .L_ZN12_GLOBAL__N_17runRingI14__hip_fp8_e5m210FuncMinMaxIS1_E7ProtoLLLi0ELi1ELi0EEEviiP15ncclDevWorkColl.numbered_sgpr, 42
	.set .L_ZN12_GLOBAL__N_17runRingI14__hip_fp8_e5m210FuncMinMaxIS1_E7ProtoLLLi0ELi1ELi0EEEviiP15ncclDevWorkColl.num_named_barrier, 0
	.set .L_ZN12_GLOBAL__N_17runRingI14__hip_fp8_e5m210FuncMinMaxIS1_E7ProtoLLLi0ELi1ELi0EEEviiP15ncclDevWorkColl.private_seg_size, 100
	.set .L_ZN12_GLOBAL__N_17runRingI14__hip_fp8_e5m210FuncMinMaxIS1_E7ProtoLLLi0ELi1ELi0EEEviiP15ncclDevWorkColl.uses_vcc, 1
	.set .L_ZN12_GLOBAL__N_17runRingI14__hip_fp8_e5m210FuncMinMaxIS1_E7ProtoLLLi0ELi1ELi0EEEviiP15ncclDevWorkColl.uses_flat_scratch, 1
	.set .L_ZN12_GLOBAL__N_17runRingI14__hip_fp8_e5m210FuncMinMaxIS1_E7ProtoLLLi0ELi1ELi0EEEviiP15ncclDevWorkColl.has_dyn_sized_stack, 0
	.set .L_ZN12_GLOBAL__N_17runRingI14__hip_fp8_e5m210FuncMinMaxIS1_E7ProtoLLLi0ELi1ELi0EEEviiP15ncclDevWorkColl.has_recursion, 0
	.set .L_ZN12_GLOBAL__N_17runRingI14__hip_fp8_e5m210FuncMinMaxIS1_E7ProtoLLLi0ELi1ELi0EEEviiP15ncclDevWorkColl.has_indirect_call, 0
	.section	.AMDGPU.csdata,"",@progbits
; Function info:
; codeLenInByte = 34952
; TotalNumSgprs: 44
; NumVgprs: 120
; ScratchSize: 100
; MemoryBound: 0
	.text
	.p2align	2                               ; -- Begin function _Z53ncclDevFunc_ReduceScatter_RING_LL_MinMax_f8e5m2_0_0_1v
	.type	_Z53ncclDevFunc_ReduceScatter_RING_LL_MinMax_f8e5m2_0_0_1v,@function
_Z53ncclDevFunc_ReduceScatter_RING_LL_MinMax_f8e5m2_0_0_1v: ; @_Z53ncclDevFunc_ReduceScatter_RING_LL_MinMax_f8e5m2_0_0_1v
; %bb.0:
	s_wait_loadcnt_dscnt 0x0
	s_wait_kmcnt 0x0
	s_mov_b32 s57, s33
	s_mov_b32 s33, s32
	s_or_saveexec_b32 s0, -1
	scratch_store_b32 off, v41, s33 offset:4 ; 4-byte Folded Spill
	s_wait_xcnt 0x0
	s_mov_b32 exec_lo, s0
	s_add_co_i32 s32, s32, 16
	scratch_store_b32 off, v40, s33         ; 4-byte Folded Spill
	v_writelane_b32 v41, s30, 0
	v_writelane_b32 v41, s31, 1
	s_trap 2
	ds_load_b32 v0, v0
	s_wait_xcnt 0x0
	v_and_b32_e32 v40, 0x3ff, v31
	s_mov_b32 s44, s12
	s_mov_b64 s[42:43], s[8:9]
	s_mov_b32 s2, exec_lo
	s_wait_dscnt 0x0
	v_cmpx_lt_i32_e64 v40, v0
	s_cbranch_execz .LBB1_5
; %bb.1:
	s_load_b32 s0, s[42:43], 0x0
	s_bfe_u32 s1, ttmp6, 0x4000c
	s_and_b32 s3, ttmp6, 15
	s_add_co_i32 s1, s1, 1
	s_getreg_b32 s4, hwreg(HW_REG_IB_STS2, 6, 4)
	s_mul_i32 s1, ttmp9, s1
	v_mov_b32_e32 v2, v40
	s_add_co_i32 s3, s3, s1
	s_cmp_eq_u32 s4, 0
                                        ; implicit-def: $vgpr3
	s_cselect_b32 s1, ttmp9, s3
	s_mov_b32 s3, 0
	s_wait_kmcnt 0x0
	s_cmp_lt_u32 s1, s0
	s_mov_b32 s1, 0
	s_cselect_b32 s0, 12, 18
	s_delay_alu instid0(SALU_CYCLE_1)
	s_add_nc_u64 s[4:5], s[42:43], s[0:1]
	s_load_u16 s0, s[4:5], 0x0
	s_trap 2
	ds_load_b32 v1, v0
	s_wait_dscnt 0x0
	s_wait_kmcnt 0x0
	v_mul_lo_u32 v1, v1, s0
	s_branch .LBB1_3
.LBB1_2:                                ;   in Loop: Header=BB1_3 Depth=1
	s_or_b32 exec_lo, exec_lo, s4
	v_dual_add_nc_u32 v2, s0, v2 :: v_dual_add_nc_u32 v3, v3, v1
	s_delay_alu instid0(VALU_DEP_1) | instskip(SKIP_1) | instid1(SALU_CYCLE_1)
	v_cmp_ge_i32_e32 vcc_lo, v2, v0
	s_or_b32 s3, vcc_lo, s3
	s_and_not1_b32 exec_lo, exec_lo, s3
	s_cbranch_execz .LBB1_5
.LBB1_3:                                ; =>This Inner Loop Header: Depth=1
	ds_load_b32 v4, v3
	s_mov_b32 s4, exec_lo
	s_wait_dscnt 0x0
	v_and_b32_e32 v4, 0x1000000, v4
	s_delay_alu instid0(VALU_DEP_1)
	v_cmpx_ne_u32_e32 0, v4
	s_cbranch_execz .LBB1_2
; %bb.4:                                ;   in Loop: Header=BB1_3 Depth=1
	ds_load_b64 v[4:5], v3 offset:104
	s_wait_dscnt 0x0
	flat_load_u8 v4, v[4:5]
	s_wait_xcnt 0x0
	v_mov_b32_e32 v5, s1
	s_wait_loadcnt_dscnt 0x0
	v_and_b32_e32 v4, 0xffff, v4
	ds_store_b64 v3, v[4:5] offset:104
	s_branch .LBB1_2
.LBB1_5:
	s_or_b32 exec_lo, exec_lo, s2
	s_wait_storecnt_dscnt 0x0
	s_barrier_signal -1
	s_barrier_wait -1
	s_trap 2
	ds_load_b32 v0, v0
	s_wait_dscnt 0x0
	v_cmp_gt_i32_e32 vcc_lo, 1, v0
	s_cbranch_vccnz .LBB1_13
; %bb.6:
	s_mov_b32 s45, 0
	s_get_pc_i64 s[46:47]
	s_add_nc_u64 s[46:47], s[46:47], _ZN12_GLOBAL__N_17runRingI14__hip_fp8_e5m210FuncMinMaxIS1_E7ProtoLLLi0ELi1ELi0EEEviiP15ncclDevWorkColl@rel64+4
	s_branch .LBB1_8
.LBB1_7:                                ;   in Loop: Header=BB1_8 Depth=1
	s_or_b32 exec_lo, exec_lo, s56
	s_trap 2
	ds_load_b32 v0, v0
	s_add_co_i32 s45, s45, 1
	s_wait_dscnt 0x0
	v_cmp_lt_i32_e32 vcc_lo, s45, v0
	s_cbranch_vccz .LBB1_13
.LBB1_8:                                ; =>This Inner Loop Header: Depth=1
	s_trap 2
	ds_load_b32 v0, v0
	s_cmp_eq_u32 s45, 0
	s_cbranch_scc1 .LBB1_11
; %bb.9:                                ;   in Loop: Header=BB1_8 Depth=1
	s_trap 2
	s_wait_dscnt 0x0
	ds_load_b32 v1, v0
	s_wait_dscnt 0x0
	v_xor_b32_e32 v1, v1, v0
	s_delay_alu instid0(VALU_DEP_1) | instskip(NEXT) | instid1(VALU_DEP_1)
	v_and_b32_e32 v1, 0xff0000, v1
	v_cmp_eq_u32_e32 vcc_lo, 0, v1
	s_cbranch_vccnz .LBB1_11
; %bb.10:                               ;   in Loop: Header=BB1_8 Depth=1
	s_barrier_signal -1
	s_barrier_wait -1
	ds_load_b32 v0, v0
.LBB1_11:                               ;   in Loop: Header=BB1_8 Depth=1
	s_wait_dscnt 0x0
	v_lshrrev_b32_e32 v0, 11, v0
	s_mov_b32 s56, exec_lo
	s_delay_alu instid0(VALU_DEP_1) | instskip(NEXT) | instid1(VALU_DEP_1)
	v_and_b32_e32 v1, 0x1fe0, v0
	v_cmpx_lt_u32_e64 v40, v1
	s_cbranch_execz .LBB1_7
; %bb.12:                               ;   in Loop: Header=BB1_8 Depth=1
	s_mov_b64 s[0:1], src_shared_base
	s_delay_alu instid0(SALU_CYCLE_1)
	v_dual_mov_b32 v0, v40 :: v_dual_mov_b32 v3, s1
	s_mov_b64 s[8:9], s[42:43]
	s_mov_b32 s12, s44
	s_swap_pc_i64 s[30:31], s[46:47]
	s_branch .LBB1_7
.LBB1_13:
	scratch_load_b32 v40, off, s33          ; 4-byte Folded Reload
	v_readlane_b32 s30, v41, 0
	v_readlane_b32 s31, v41, 1
	s_mov_b32 s32, s33
	s_wait_xcnt 0x0
	s_or_saveexec_b32 s0, -1
	scratch_load_b32 v41, off, s33 offset:4 ; 4-byte Folded Reload
	s_wait_xcnt 0x0
	s_mov_b32 exec_lo, s0
	s_mov_b32 s33, s57
	s_wait_loadcnt 0x0
	s_set_pc_i64 s[30:31]
.Lfunc_end1:
	.size	_Z53ncclDevFunc_ReduceScatter_RING_LL_MinMax_f8e5m2_0_0_1v, .Lfunc_end1-_Z53ncclDevFunc_ReduceScatter_RING_LL_MinMax_f8e5m2_0_0_1v
                                        ; -- End function
	.set .L_Z53ncclDevFunc_ReduceScatter_RING_LL_MinMax_f8e5m2_0_0_1v.num_vgpr, max(42, .L_ZN12_GLOBAL__N_17runRingI14__hip_fp8_e5m210FuncMinMaxIS1_E7ProtoLLLi0ELi1ELi0EEEviiP15ncclDevWorkColl.num_vgpr)
	.set .L_Z53ncclDevFunc_ReduceScatter_RING_LL_MinMax_f8e5m2_0_0_1v.num_agpr, max(0, .L_ZN12_GLOBAL__N_17runRingI14__hip_fp8_e5m210FuncMinMaxIS1_E7ProtoLLLi0ELi1ELi0EEEviiP15ncclDevWorkColl.num_agpr)
	.set .L_Z53ncclDevFunc_ReduceScatter_RING_LL_MinMax_f8e5m2_0_0_1v.numbered_sgpr, max(58, .L_ZN12_GLOBAL__N_17runRingI14__hip_fp8_e5m210FuncMinMaxIS1_E7ProtoLLLi0ELi1ELi0EEEviiP15ncclDevWorkColl.numbered_sgpr)
	.set .L_Z53ncclDevFunc_ReduceScatter_RING_LL_MinMax_f8e5m2_0_0_1v.num_named_barrier, max(0, .L_ZN12_GLOBAL__N_17runRingI14__hip_fp8_e5m210FuncMinMaxIS1_E7ProtoLLLi0ELi1ELi0EEEviiP15ncclDevWorkColl.num_named_barrier)
	.set .L_Z53ncclDevFunc_ReduceScatter_RING_LL_MinMax_f8e5m2_0_0_1v.private_seg_size, 16+max(.L_ZN12_GLOBAL__N_17runRingI14__hip_fp8_e5m210FuncMinMaxIS1_E7ProtoLLLi0ELi1ELi0EEEviiP15ncclDevWorkColl.private_seg_size)
	.set .L_Z53ncclDevFunc_ReduceScatter_RING_LL_MinMax_f8e5m2_0_0_1v.uses_vcc, or(1, .L_ZN12_GLOBAL__N_17runRingI14__hip_fp8_e5m210FuncMinMaxIS1_E7ProtoLLLi0ELi1ELi0EEEviiP15ncclDevWorkColl.uses_vcc)
	.set .L_Z53ncclDevFunc_ReduceScatter_RING_LL_MinMax_f8e5m2_0_0_1v.uses_flat_scratch, or(0, .L_ZN12_GLOBAL__N_17runRingI14__hip_fp8_e5m210FuncMinMaxIS1_E7ProtoLLLi0ELi1ELi0EEEviiP15ncclDevWorkColl.uses_flat_scratch)
	.set .L_Z53ncclDevFunc_ReduceScatter_RING_LL_MinMax_f8e5m2_0_0_1v.has_dyn_sized_stack, or(0, .L_ZN12_GLOBAL__N_17runRingI14__hip_fp8_e5m210FuncMinMaxIS1_E7ProtoLLLi0ELi1ELi0EEEviiP15ncclDevWorkColl.has_dyn_sized_stack)
	.set .L_Z53ncclDevFunc_ReduceScatter_RING_LL_MinMax_f8e5m2_0_0_1v.has_recursion, or(1, .L_ZN12_GLOBAL__N_17runRingI14__hip_fp8_e5m210FuncMinMaxIS1_E7ProtoLLLi0ELi1ELi0EEEviiP15ncclDevWorkColl.has_recursion)
	.set .L_Z53ncclDevFunc_ReduceScatter_RING_LL_MinMax_f8e5m2_0_0_1v.has_indirect_call, or(0, .L_ZN12_GLOBAL__N_17runRingI14__hip_fp8_e5m210FuncMinMaxIS1_E7ProtoLLLi0ELi1ELi0EEEviiP15ncclDevWorkColl.has_indirect_call)
	.section	.AMDGPU.csdata,"",@progbits
; Function info:
; codeLenInByte = 684
; TotalNumSgprs: 60
; NumVgprs: 120
; ScratchSize: 116
; MemoryBound: 0
	.text
	.p2align	2                               ; -- Begin function _ZN12_GLOBAL__N_17runRingI14__hip_fp8_e5m210FuncMinMaxIS1_E7ProtoLLLi0ELi2ELi0EEEviiP15ncclDevWorkColl
	.type	_ZN12_GLOBAL__N_17runRingI14__hip_fp8_e5m210FuncMinMaxIS1_E7ProtoLLLi0ELi2ELi0EEEviiP15ncclDevWorkColl,@function
_ZN12_GLOBAL__N_17runRingI14__hip_fp8_e5m210FuncMinMaxIS1_E7ProtoLLLi0ELi2ELi0EEEviiP15ncclDevWorkColl: ; @_ZN12_GLOBAL__N_17runRingI14__hip_fp8_e5m210FuncMinMaxIS1_E7ProtoLLLi0ELi2ELi0EEEviiP15ncclDevWorkColl
; %bb.0:
	s_wait_loadcnt_dscnt 0x0
	s_wait_kmcnt 0x0
	s_clause 0x17
	scratch_store_b32 off, v40, s32 offset:92
	; meta instruction
	scratch_store_b32 off, v41, s32 offset:88
	; meta instruction
	;; [unrolled: 2-line block ×23, first 2 shown]
	scratch_store_b32 off, v79, s32
	s_trap 2
	s_clause 0x2
	flat_load_b32 v12, v[2:3]
	flat_load_b128 v[4:7], v[2:3] offset:72
	flat_load_b64 v[68:69], v[2:3] offset:88
	v_mov_b32_e32 v20, v1
	ds_load_b32 v8, v0
	ds_load_b64 v[22:23], v0
	s_mov_b32 s0, exec_lo
                                        ; implicit-def: $vgpr54_vgpr55
                                        ; implicit-def: $vgpr24_vgpr25
	s_wait_dscnt 0x1
	v_readfirstlane_b32 s10, v8
	s_wait_loadcnt 0x2
	v_bfe_u32 v9, v12, 8, 8
	v_bitop3_b32 v1, v12, 0xff, v12 bitop3:0x3f
	s_delay_alu instid0(VALU_DEP_1) | instskip(NEXT) | instid1(VALU_DEP_1)
	v_add_nc_u32_e32 v10, v9, v1
	v_ashrrev_i32_e32 v11, 31, v10
	s_wait_loadcnt 0x1
	s_delay_alu instid0(VALU_DEP_1) | instskip(SKIP_2) | instid1(VALU_DEP_1)
	v_mul_u64_e32 v[18:19], v[6:7], v[10:11]
	v_and_b32_e32 v10, 0xff, v12
	s_wait_xcnt 0x0
	v_cmpx_ne_u32_e64 v8, v10
	s_xor_b32 s0, exec_lo, s0
	s_cbranch_execz .LBB2_6
; %bb.1:
	s_mov_b32 s1, exec_lo
                                        ; implicit-def: $vgpr54_vgpr55
                                        ; implicit-def: $vgpr24_vgpr25
	v_cmpx_ne_u32_e64 v8, v9
	s_xor_b32 s1, exec_lo, s1
	s_cbranch_execz .LBB2_3
; %bb.2:
	flat_load_b64 v[10:11], v[2:3] offset:96
	v_add_nc_u32_e32 v1, v8, v1
	s_delay_alu instid0(VALU_DEP_1) | instskip(NEXT) | instid1(VALU_DEP_1)
	v_mad_nc_u64_u32 v[24:25], v6, v1, v[4:5]
	v_mad_u32 v8, v7, v1, v25
	v_ashrrev_i32_e32 v1, 31, v1
	s_delay_alu instid0(VALU_DEP_1)
	v_mad_u32 v25, v6, v1, v8
	s_wait_loadcnt_dscnt 0x0
	v_lshrrev_b64 v[54:55], 17, v[10:11]
.LBB2_3:
	s_wait_xcnt 0x0
	s_and_not1_saveexec_b32 s1, s1
	s_cbranch_execz .LBB2_5
; %bb.4:
	flat_load_b32 v1, v[2:3] offset:100
	v_add_nc_u64_e32 v[24:25], v[18:19], v[4:5]
	s_wait_loadcnt 0x1
	v_mov_b64_e32 v[6:7], v[68:69]
	s_wait_loadcnt_dscnt 0x0
	v_lshrrev_b32_e32 v54, 6, v1
.LBB2_5:
	s_wait_xcnt 0x0
	s_or_b32 exec_lo, exec_lo, s1
.LBB2_6:
	s_and_not1_saveexec_b32 s0, s0
	s_cbranch_execz .LBB2_8
; %bb.7:
	flat_load_b64 v[6:7], v[2:3] offset:96
	v_mov_b64_e32 v[24:25], 0
	s_wait_loadcnt_dscnt 0x0
	v_lshlrev_b64_e32 v[54:55], 4, v[6:7]
	v_mov_b64_e32 v[6:7], v[4:5]
.LBB2_8:
	s_wait_xcnt 0x0
	s_or_b32 exec_lo, exec_lo, s0
	s_load_b32 s0, s[8:9], 0x0
	s_clause 0x2
	flat_load_b64 v[86:87], v[2:3] offset:104
	flat_load_u16 v13, v[2:3] offset:8
	flat_load_b32 v12, v[2:3] offset:4
	s_bfe_u32 s1, ttmp6, 0x4000c
	s_and_b32 s2, ttmp6, 15
	s_add_co_i32 s1, s1, 1
	s_getreg_b32 s3, hwreg(HW_REG_IB_STS2, 6, 4)
	s_mul_i32 s1, ttmp9, s1
	v_mov_b32_e32 v14, 0
	s_add_co_i32 s2, s2, s1
	s_cmp_eq_u32 s3, 0
	s_mov_b32 s1, 0
	s_cselect_b32 s2, ttmp9, s2
	v_mov_b64_e32 v[26:27], 0
	s_wait_kmcnt 0x0
	s_cmp_lt_u32 s2, s0
	s_cselect_b32 s0, 12, 18
	s_delay_alu instid0(SALU_CYCLE_1)
	s_add_nc_u64 s[2:3], s[8:9], s[0:1]
	flat_load_b128 v[8:11], v[2:3] offset:16
	global_load_u16 v1, v14, s[2:3]
	s_trap 2
	s_wait_xcnt 0x1
	ds_load_b32 v2, v0
	s_wait_dscnt 0x0
	v_cmp_gt_i32_e32 vcc_lo, 0, v2
	s_wait_xcnt 0x0
	v_readfirstlane_b32 s2, v2
	s_and_b32 vcc_lo, exec_lo, vcc_lo
	s_wait_loadcnt 0x2
	v_lshrrev_b64 v[14:15], 31, v[12:13]
	v_and_b32_e32 v12, 31, v0
	s_delay_alu instid0(VALU_DEP_1) | instskip(NEXT) | instid1(VALU_DEP_3)
	v_cmp_eq_u32_e64 s0, 0, v12
	v_and_b32_e32 v3, 3, v14
	s_delay_alu instid0(VALU_DEP_1)
	v_and_b32_e32 v13, 0xffff, v3
	s_cbranch_vccnz .LBB2_10
; %bb.9:
	s_trap 2
	ds_load_b64 v[14:15], v0
	s_mov_b32 s1, 1
	s_wait_dscnt 0x0
	v_readfirstlane_b32 s4, v14
	v_readfirstlane_b32 s5, v15
	flat_load_b64 v[2:3], v2, s[4:5] scale_offset
	s_wait_loadcnt_dscnt 0x0
	v_mad_nc_u64_u32 v[2:3], 0xa8, v13, v[2:3]
	s_clause 0x1
	flat_load_b64 v[32:33], v[2:3] offset:504
	flat_load_b64 v[34:35], v[2:3] offset:608
	v_add_nc_u64_e32 v[28:29], 0x1f8, v[2:3]
	s_wait_xcnt 0x0
	s_delay_alu instid0(VALU_DEP_1)
	v_dual_cndmask_b32 v3, 0, v29, s0 :: v_dual_cndmask_b32 v2, 0, v28, s0
	s_branch .LBB2_11
.LBB2_10:
	v_mov_b64_e32 v[28:29], 0
	v_mov_b64_e32 v[2:3], 0
                                        ; implicit-def: $vgpr34_vgpr35
                                        ; implicit-def: $vgpr32_vgpr33
.LBB2_11:
	s_trap 2
	ds_load_b32 v14, v0
	s_wait_dscnt 0x0
	v_cmp_gt_i32_e32 vcc_lo, 0, v14
	s_cbranch_vccnz .LBB2_13
; %bb.12:
	s_trap 2
	ds_load_b64 v[16:17], v0
	v_cmp_eq_u32_e32 vcc_lo, 0, v12
	s_wait_dscnt 0x0
	v_readfirstlane_b32 s4, v16
	v_readfirstlane_b32 s5, v17
	flat_load_b64 v[14:15], v14, s[4:5] scale_offset
	s_wait_loadcnt_dscnt 0x0
	v_mad_nc_u64_u32 v[26:27], 0xa8, v13, v[14:15]
	s_clause 0x1
	flat_load_b64 v[36:37], v[26:27]
	flat_load_b64 v[16:17], v[26:27] offset:104
	v_dual_cndmask_b32 v53, 0, v27 :: v_dual_cndmask_b32 v52, 0, v26
	s_branch .LBB2_14
.LBB2_13:
	v_mov_b64_e32 v[52:53], 0
                                        ; implicit-def: $vgpr16_vgpr17
                                        ; implicit-def: $vgpr36_vgpr37
.LBB2_14:
	s_wait_xcnt 0x2
	v_subrev_nc_u32_e32 v14, 32, v20
	v_cmp_gt_u32_e32 vcc_lo, s1, v12
	v_mov_b64_e32 v[12:13], 0
	v_mov_b64_e32 v[48:49], 0
                                        ; implicit-def: $vgpr38_vgpr39
	s_delay_alu instid0(VALU_DEP_4)
	v_cmp_ge_i32_e64 s0, v0, v14
	s_and_b32 s14, s0, vcc_lo
	s_wait_xcnt 0x0
	s_and_saveexec_b32 s0, s14
	s_cbranch_execz .LBB2_16
; %bb.15:
	s_clause 0x1
	flat_load_b64 v[48:49], v[2:3] offset:56
	flat_load_b64 v[38:39], v[2:3] offset:104
.LBB2_16:
	s_wait_xcnt 0x0
	s_or_b32 exec_lo, exec_lo, s0
	v_mov_b64_e32 v[50:51], 0
	v_cmp_gt_u32_e64 s0, s1, v0
                                        ; implicit-def: $vgpr64_vgpr65
	s_and_saveexec_b32 s1, s0
	s_cbranch_execz .LBB2_18
; %bb.17:
	flat_load_b64 v[50:51], v[52:53] offset:56
	s_wait_loadcnt_dscnt 0x0
	flat_load_b64 v[64:65], v[50:51] scope:SCOPE_SYS
	s_wait_loadcnt 0x0
	flat_load_b128 v[12:15], v[52:53] offset:96
.LBB2_18:
	s_wait_xcnt 0x0
	s_or_b32 exec_lo, exec_lo, s1
	v_mov_b64_e32 v[52:53], 0
	s_wait_loadcnt 0x0
	v_and_b32_e32 v56, 0xffff, v1
	s_mov_b32 s15, exec_lo
	v_cmpx_ne_u64_e32 0, v[6:7]
	s_cbranch_execnz .LBB2_34
; %bb.19:
	s_or_b32 exec_lo, exec_lo, s15
	s_and_saveexec_b32 s1, s14
	s_cbranch_execnz .LBB2_1248
.LBB2_20:
	s_or_b32 exec_lo, exec_lo, s1
	s_and_saveexec_b32 s1, s0
	s_cbranch_execz .LBB2_22
.LBB2_21:
	s_wait_dscnt 0x0
	flat_store_b64 v[26:27], v[14:15] offset:104
.LBB2_22:
	s_wait_xcnt 0x0
	s_or_b32 exec_lo, exec_lo, s1
	s_delay_alu instid0(SALU_CYCLE_1)
	s_mov_b32 s0, exec_lo
	v_cmpx_ne_u32_e32 32, v20
	s_cbranch_execz .LBB2_1255
; %bb.23:
	s_mov_b32 s1, exec_lo
	v_cmpx_ne_u32_e64 v20, v56
	s_xor_b32 s1, exec_lo, s1
	s_cbranch_execz .LBB2_1253
; %bb.24:
	v_and_b32_e32 v0, 31, v31
	s_mov_b32 s2, exec_lo
	s_delay_alu instid0(VALU_DEP_1)
	v_cmpx_eq_u32_e32 0, v0
	s_cbranch_execz .LBB2_1252
; %bb.25:
	s_mov_b32 s4, exec_lo
	s_mov_b32 s3, exec_lo
	v_mbcnt_lo_u32_b32 v0, s4, 0
	global_wb scope:SCOPE_DEV
	s_wait_storecnt 0x0
	s_wait_loadcnt_dscnt 0x0
	global_inv scope:SCOPE_DEV
	v_cmpx_eq_u32_e32 0, v0
	s_cbranch_execz .LBB2_27
; %bb.26:
	s_bcnt1_i32_b32 s4, s4
	s_delay_alu instid0(SALU_CYCLE_1)
	v_dual_mov_b32 v1, 0 :: v_dual_mov_b32 v0, s4
	s_wait_loadcnt 0x0
	ds_add_u64 v0, v[0:1]
	s_trap 2
.LBB2_27:
	s_or_b32 exec_lo, exec_lo, s3
	s_trap 2
	ds_load_b64 v[2:3], v0
	s_wait_dscnt 0x0
	v_dual_mov_b32 v1, 0 :: v_dual_lshrrev_b32 v0, 5, v20
	s_mov_b32 s3, exec_lo
	s_delay_alu instid0(VALU_DEP_1) | instskip(NEXT) | instid1(VALU_DEP_1)
	v_add_nc_u64_e32 v[0:1], v[52:53], v[0:1]
	v_cmpx_lt_u64_e64 v[2:3], v[0:1]
	s_cbranch_execz .LBB2_1251
; %bb.28:
	s_mov_b32 s4, 0
	s_mov_b32 s7, 0
                                        ; implicit-def: $sgpr5
                                        ; implicit-def: $sgpr6
	s_branch .LBB2_30
.LBB2_29:                               ;   in Loop: Header=BB2_30 Depth=1
	s_or_b32 exec_lo, exec_lo, s9
	s_delay_alu instid0(SALU_CYCLE_1) | instskip(NEXT) | instid1(SALU_CYCLE_1)
	s_and_b32 s8, exec_lo, s10
	s_or_b32 s4, s8, s4
	s_and_not1_b32 s5, s5, exec_lo
	s_and_b32 s8, s6, exec_lo
	s_delay_alu instid0(SALU_CYCLE_1)
	s_or_b32 s5, s5, s8
	s_and_not1_b32 exec_lo, exec_lo, s4
	s_cbranch_execz .LBB2_1249
.LBB2_30:                               ; =>This Inner Loop Header: Depth=1
	s_add_co_i32 s7, s7, 1
	s_delay_alu instid0(SALU_CYCLE_1) | instskip(SKIP_1) | instid1(SALU_CYCLE_1)
	s_cmp_lg_u32 s7, 0x2710
	s_cselect_b32 s8, -1, 0
	s_and_b32 vcc_lo, exec_lo, s8
	s_cbranch_vccz .LBB2_32
; %bb.31:                               ;   in Loop: Header=BB2_30 Depth=1
	s_mov_b32 s10, -1
	s_or_b32 s6, s6, exec_lo
	s_and_saveexec_b32 s9, s8
	s_cbranch_execz .LBB2_29
	s_branch .LBB2_33
.LBB2_32:                               ;   in Loop: Header=BB2_30 Depth=1
	s_trap 2
	ds_load_b64 v[2:3], v0
	s_and_not1_b32 s8, s8, exec_lo
	s_mov_b32 s7, 0
	s_wait_loadcnt_dscnt 0x0
	flat_load_b32 v2, v[2:3] scope:SCOPE_SYS
	s_wait_loadcnt_dscnt 0x0
	global_inv scope:SCOPE_SYS
	v_cmp_eq_u32_e32 vcc_lo, 0, v2
	s_and_b32 s9, vcc_lo, exec_lo
	s_delay_alu instid0(SALU_CYCLE_1)
	s_or_b32 s8, s8, s9
	s_mov_b32 s10, -1
	s_or_b32 s6, s6, exec_lo
	s_and_saveexec_b32 s9, s8
	s_cbranch_execz .LBB2_29
.LBB2_33:                               ;   in Loop: Header=BB2_30 Depth=1
	s_sleep 1
	s_trap 2
	ds_load_b64 v[2:3], v0
	s_wait_dscnt 0x0
	s_and_not1_b32 s6, s6, exec_lo
	v_cmp_ge_u64_e32 vcc_lo, v[2:3], v[0:1]
	s_or_not1_b32 s10, vcc_lo, exec_lo
	s_branch .LBB2_29
.LBB2_34:
	v_dual_mov_b32 v55, 0 :: v_dual_bitop2_b32 v1, 31, v31 bitop3:0x40
	v_add_nc_u64_e32 v[2:3], v[68:69], v[4:5]
	s_ashr_i32 s1, s2, 31
	s_ashr_i32 s11, s10, 31
	s_delay_alu instid0(VALU_DEP_2)
	v_mov_b32_e32 v85, v55
	v_cmp_eq_u32_e64 s5, 0, v1
	v_and_b32_e32 v1, 1, v86
	s_lshr_b32 s1, s1, 29
	v_add_nc_u64_e32 v[68:69], v[2:3], v[18:19]
	v_add_nc_u64_e32 v[2:3], v[24:25], v[10:11]
	v_dual_mov_b32 v83, v55 :: v_dual_lshlrev_b32 v84, 3, v0
	v_cmp_eq_u32_e64 s6, 1, v1
	v_dual_mov_b32 v1, v55 :: v_dual_mov_b32 v21, v55
	s_add_co_i32 s2, s2, s1
	v_mov_b64_e32 v[80:81], 0
	s_ashr_i32 s4, s2, 3
	s_ashr_i32 s16, s2, 7
	s_lshl_b64 s[2:3], s[10:11], 2
	v_cmp_ne_u64_e64 s1, 0, v[50:51]
	v_add_nc_u64_e32 v[70:71], s[2:3], v[22:23]
	s_wait_dscnt 0x0
	v_cmp_ne_u64_e64 s2, 0, v[12:13]
	v_add_nc_u64_e32 v[96:97], v[10:11], v[84:85]
	v_cmp_ne_u64_e64 s7, 0, v[48:49]
	v_add_nc_u64_e32 v[8:9], v[8:9], v[84:85]
	v_add_nc_u64_e32 v[98:99], v[2:3], v[84:85]
	v_lshlrev_b64_e32 v[102:103], 4, v[20:21]
	v_mov_b64_e32 v[52:53], 0
	v_and_b32_e32 v66, 0x1fffff0, v54
	v_dual_mov_b32 v67, v55 :: v_dual_lshrrev_b32 v82, 5, v20
	s_and_b32 s11, s4, -16
	v_cmp_ne_u32_e64 s3, 32, v20
	v_cmp_ne_u32_e64 s4, v20, v56
	v_dual_mov_b32 v87, v55 :: v_dual_lshlrev_b32 v86, 3, v20
	v_lshlrev_b32_e32 v57, 6, v20
	v_lshl_add_u64 v[100:101], v[0:1], 4, v[36:37]
	v_mov_b32_e32 v1, 1
	v_mov_b32_e32 v21, 0x7f800000
	v_dual_mov_b32 v58, 0x7c :: v_dual_mov_b32 v59, 0
	s_cmp_gt_i32 s10, 2
	s_mov_b64 s[12:13], 0xffffffffffffff
	s_mov_b32 s17, 0
	s_cselect_b32 s18, -1, 0
	s_branch .LBB2_36
.LBB2_35:                               ;   in Loop: Header=BB2_36 Depth=1
	s_wait_xcnt 0x0
	s_or_b32 exec_lo, exec_lo, s8
	v_add_nc_u64_e32 v[80:81], v[80:81], v[66:67]
	v_add_nc_u64_e32 v[34:35], 1, v[34:35]
	;; [unrolled: 1-line block ×3, first 2 shown]
	s_delay_alu instid0(VALU_DEP_3) | instskip(SKIP_1) | instid1(SALU_CYCLE_1)
	v_cmp_ge_u64_e32 vcc_lo, v[80:81], v[6:7]
	s_or_b32 s17, vcc_lo, s17
	s_and_not1_b32 exec_lo, exec_lo, s17
	s_cbranch_execz .LBB2_1247
.LBB2_36:                               ; =>This Loop Header: Depth=1
                                        ;     Child Loop BB2_41 Depth 2
                                        ;     Child Loop BB2_60 Depth 2
	;; [unrolled: 1-line block ×5, first 2 shown]
                                        ;       Child Loop BB2_90 Depth 3
                                        ;       Child Loop BB2_109 Depth 3
	;; [unrolled: 1-line block ×3, first 2 shown]
                                        ;         Child Loop BB2_138 Depth 4
                                        ;       Child Loop BB2_665 Depth 3
                                        ;       Child Loop BB2_126 Depth 3
                                        ;     Child Loop BB2_681 Depth 2
                                        ;       Child Loop BB2_689 Depth 3
                                        ;     Child Loop BB2_1235 Depth 2
	s_wait_loadcnt_dscnt 0x0
	flat_load_b32 v19, v[70:71] offset:-4
	v_sub_nc_u64_e32 v[2:3], v[6:7], v[80:81]
	s_delay_alu instid0(VALU_DEP_1) | instskip(NEXT) | instid1(VALU_DEP_1)
	v_min_u64 v[2:3], v[66:67], v[2:3]
	v_lshl_add_u32 v3, v2, 1, 14
	s_delay_alu instid0(VALU_DEP_1)
	v_and_b32_e32 v61, 0x7fffff0, v3
	s_wait_xcnt 0x0
	s_and_saveexec_b32 s9, s1
	s_cbranch_execz .LBB2_52
; %bb.37:                               ;   in Loop: Header=BB2_36 Depth=1
	v_add_nc_u64_e32 v[4:5], 1, v[14:15]
	v_add_nc_u64_e32 v[112:113], 8, v[64:65]
	s_mov_b32 s19, exec_lo
	s_delay_alu instid0(VALU_DEP_1)
	v_cmpx_lt_u64_e64 v[112:113], v[4:5]
	s_cbranch_execz .LBB2_49
; %bb.38:                               ;   in Loop: Header=BB2_36 Depth=1
	s_mov_b32 s20, 0
	s_mov_b32 s24, 0
	v_cmp_eq_u32_e32 vcc_lo, 0, v59
                                        ; implicit-def: $sgpr21
                                        ; implicit-def: $sgpr22
                                        ; implicit-def: $sgpr23
	s_branch .LBB2_41
.LBB2_39:                               ;   in Loop: Header=BB2_41 Depth=2
	s_or_b32 exec_lo, exec_lo, s29
	s_delay_alu instid0(SALU_CYCLE_1)
	s_and_not1_b32 s8, s23, exec_lo
	s_and_b32 s23, s27, exec_lo
	s_and_not1_b32 s22, s22, exec_lo
	s_and_b32 s26, s26, exec_lo
	s_or_b32 s23, s8, s23
	s_or_b32 s22, s22, s26
.LBB2_40:                               ;   in Loop: Header=BB2_41 Depth=2
	s_or_b32 exec_lo, exec_lo, s25
	s_delay_alu instid0(SALU_CYCLE_1) | instskip(NEXT) | instid1(SALU_CYCLE_1)
	s_and_b32 s8, exec_lo, s22
	s_or_b32 s20, s8, s20
	s_and_not1_b32 s8, s21, exec_lo
	s_and_b32 s21, s23, exec_lo
	s_delay_alu instid0(SALU_CYCLE_1)
	s_or_b32 s21, s8, s21
	s_and_not1_b32 exec_lo, exec_lo, s20
	s_cbranch_execz .LBB2_46
.LBB2_41:                               ;   Parent Loop BB2_36 Depth=1
                                        ; =>  This Inner Loop Header: Depth=2
	s_sleep 1
	s_wait_loadcnt_dscnt 0x0
	flat_load_b64 v[64:65], v[50:51] scope:SCOPE_DEV
	v_mov_b32_e32 v59, 1
	s_or_b32 s23, s23, exec_lo
	s_or_b32 s22, s22, exec_lo
                                        ; implicit-def: $vgpr3
	s_wait_xcnt 0x0
	s_and_saveexec_b32 s25, vcc_lo
	s_cbranch_execz .LBB2_40
; %bb.42:                               ;   in Loop: Header=BB2_41 Depth=2
	s_add_co_i32 s24, s24, 1
	s_mov_b32 s26, -1
	s_cmp_lg_u32 s24, 0x2710
	s_mov_b32 s27, -1
	s_cselect_b32 s28, -1, 0
	s_cmp_eq_u32 s24, 0x2710
                                        ; implicit-def: $vgpr3
	s_cbranch_scc1 .LBB2_44
; %bb.43:                               ;   in Loop: Header=BB2_41 Depth=2
	v_mov_b32_e32 v59, 1
	s_and_saveexec_b32 s29, s28
	s_cbranch_execz .LBB2_39
	s_branch .LBB2_45
.LBB2_44:                               ;   in Loop: Header=BB2_41 Depth=2
	s_trap 2
	ds_load_b64 v[112:113], v0
	s_and_not1_b32 s24, s28, exec_lo
	s_mov_b32 s27, 0
	s_wait_storecnt 0x0
	s_wait_loadcnt_dscnt 0x0
	flat_load_b32 v3, v[112:113] scope:SCOPE_SYS
	s_wait_loadcnt_dscnt 0x0
	global_inv scope:SCOPE_SYS
	v_cmp_eq_u32_e64 s8, 0, v3
	s_and_b32 s8, s8, exec_lo
	s_delay_alu instid0(SALU_CYCLE_1)
	s_or_b32 s28, s24, s8
	s_mov_b32 s24, 0
	v_mov_b32_e32 v59, 1
	s_and_saveexec_b32 s29, s28
	s_cbranch_execz .LBB2_39
.LBB2_45:                               ;   in Loop: Header=BB2_41 Depth=2
	s_wait_loadcnt_dscnt 0x0
	v_add_nc_u64_e32 v[112:113], 8, v[64:65]
	v_mov_b32_e32 v59, 0
	s_or_b32 s27, s27, exec_lo
	s_delay_alu instid0(VALU_DEP_2)
	v_cmp_ge_u64_e64 s8, v[112:113], v[4:5]
	s_or_not1_b32 s26, s8, exec_lo
	s_branch .LBB2_39
.LBB2_46:                               ;   in Loop: Header=BB2_36 Depth=1
	s_or_b32 exec_lo, exec_lo, s20
	s_xor_b32 s8, s21, -1
	s_delay_alu instid0(SALU_CYCLE_1) | instskip(NEXT) | instid1(SALU_CYCLE_1)
	s_and_saveexec_b32 s20, s8
	s_xor_b32 s8, exec_lo, s20
	s_cbranch_execz .LBB2_48
; %bb.47:                               ;   in Loop: Header=BB2_36 Depth=1
	v_mov_b32_e32 v59, 1
	s_wait_storecnt 0x0
	s_wait_loadcnt_dscnt 0x0
	ds_store_b32 v0, v3
	s_trap 2
.LBB2_48:                               ;   in Loop: Header=BB2_36 Depth=1
	s_or_b32 exec_lo, exec_lo, s8
.LBB2_49:                               ;   in Loop: Header=BB2_36 Depth=1
	s_delay_alu instid0(SALU_CYCLE_1)
	s_or_b32 exec_lo, exec_lo, s19
	s_and_saveexec_b32 s8, s2
	s_cbranch_execz .LBB2_51
; %bb.50:                               ;   in Loop: Header=BB2_36 Depth=1
	v_and_b32_e32 v54, 0x7ffffff8, v14
	s_delay_alu instid0(VALU_DEP_1) | instskip(SKIP_1) | instid1(VALU_DEP_1)
	v_cmp_eq_u64_e32 vcc_lo, 0x7ffffff8, v[54:55]
	v_cndmask_b32_e64 v112, v61, s11, vcc_lo
	v_dual_ashrrev_i32 v113, 31, v112 :: v_dual_bitop2_b32 v3, 7, v14 bitop3:0x40
	s_delay_alu instid0(VALU_DEP_1)
	v_mad_nc_u64_u32 v[14:15], v3, 24, v[12:13]
	flat_store_b64 v[14:15], v[112:113] offset:8 scope:SCOPE_SYS
	s_wait_storecnt 0x0
.LBB2_51:                               ;   in Loop: Header=BB2_36 Depth=1
	s_wait_xcnt 0x0
	s_or_b32 exec_lo, exec_lo, s8
	v_mov_b64_e32 v[14:15], v[4:5]
.LBB2_52:                               ;   in Loop: Header=BB2_36 Depth=1
	s_or_b32 exec_lo, exec_lo, s9
	s_and_saveexec_b32 s8, s3
	s_cbranch_execz .LBB2_71
; %bb.53:                               ;   in Loop: Header=BB2_36 Depth=1
	s_and_saveexec_b32 s9, s4
	s_delay_alu instid0(SALU_CYCLE_1)
	s_xor_b32 s9, exec_lo, s9
	s_cbranch_execz .LBB2_68
; %bb.54:                               ;   in Loop: Header=BB2_36 Depth=1
	s_and_saveexec_b32 s19, s5
	s_cbranch_execz .LBB2_67
; %bb.55:                               ;   in Loop: Header=BB2_36 Depth=1
	s_mov_b32 s21, exec_lo
	s_mov_b32 s20, exec_lo
	v_mbcnt_lo_u32_b32 v3, s21, 0
	global_wb scope:SCOPE_DEV
	s_wait_storecnt 0x0
	s_wait_loadcnt_dscnt 0x0
	global_inv scope:SCOPE_DEV
	v_cmpx_eq_u32_e32 0, v3
	s_cbranch_execz .LBB2_57
; %bb.56:                               ;   in Loop: Header=BB2_36 Depth=1
	s_bcnt1_i32_b32 s21, s21
	s_delay_alu instid0(SALU_CYCLE_1)
	v_mov_b32_e32 v54, s21
	s_wait_loadcnt 0x0
	ds_add_u64 v0, v[54:55]
	s_trap 2
.LBB2_57:                               ;   in Loop: Header=BB2_36 Depth=1
	s_or_b32 exec_lo, exec_lo, s20
	s_trap 2
	ds_load_b64 v[4:5], v0
	s_wait_dscnt 0x0
	v_add_nc_u64_e32 v[52:53], v[52:53], v[82:83]
	s_mov_b32 s20, exec_lo
	s_delay_alu instid0(VALU_DEP_1)
	v_cmpx_lt_u64_e64 v[4:5], v[52:53]
	s_cbranch_execz .LBB2_66
; %bb.58:                               ;   in Loop: Header=BB2_36 Depth=1
	s_mov_b32 s21, 0
	s_mov_b32 s24, 0
                                        ; implicit-def: $sgpr22
                                        ; implicit-def: $sgpr23
	s_branch .LBB2_60
.LBB2_59:                               ;   in Loop: Header=BB2_60 Depth=2
	s_or_b32 exec_lo, exec_lo, s26
	s_delay_alu instid0(SALU_CYCLE_1) | instskip(NEXT) | instid1(SALU_CYCLE_1)
	s_and_b32 s25, exec_lo, s27
	s_or_b32 s21, s25, s21
	s_and_not1_b32 s22, s22, exec_lo
	s_and_b32 s25, s23, exec_lo
	s_delay_alu instid0(SALU_CYCLE_1)
	s_or_b32 s22, s22, s25
	s_and_not1_b32 exec_lo, exec_lo, s21
	s_cbranch_execz .LBB2_64
.LBB2_60:                               ;   Parent Loop BB2_36 Depth=1
                                        ; =>  This Inner Loop Header: Depth=2
	s_add_co_i32 s24, s24, 1
	s_delay_alu instid0(SALU_CYCLE_1) | instskip(SKIP_1) | instid1(SALU_CYCLE_1)
	s_cmp_lg_u32 s24, 0x2710
	s_cselect_b32 s25, -1, 0
	s_and_b32 vcc_lo, exec_lo, s25
	s_cbranch_vccz .LBB2_62
; %bb.61:                               ;   in Loop: Header=BB2_60 Depth=2
	s_mov_b32 s27, -1
	s_or_b32 s23, s23, exec_lo
	s_and_saveexec_b32 s26, s25
	s_cbranch_execz .LBB2_59
	s_branch .LBB2_63
.LBB2_62:                               ;   in Loop: Header=BB2_60 Depth=2
	s_trap 2
	ds_load_b64 v[4:5], v0
	s_and_not1_b32 s25, s25, exec_lo
	s_mov_b32 s24, 0
	s_wait_loadcnt_dscnt 0x0
	flat_load_b32 v3, v[4:5] scope:SCOPE_SYS
	s_wait_loadcnt_dscnt 0x0
	global_inv scope:SCOPE_SYS
	v_cmp_eq_u32_e32 vcc_lo, 0, v3
	s_and_b32 s26, vcc_lo, exec_lo
	s_delay_alu instid0(SALU_CYCLE_1)
	s_or_b32 s25, s25, s26
	s_mov_b32 s27, -1
	s_or_b32 s23, s23, exec_lo
	s_and_saveexec_b32 s26, s25
	s_cbranch_execz .LBB2_59
.LBB2_63:                               ;   in Loop: Header=BB2_60 Depth=2
	s_sleep 1
	s_trap 2
	ds_load_b64 v[4:5], v0
	s_wait_dscnt 0x0
	s_and_not1_b32 s23, s23, exec_lo
	v_cmp_ge_u64_e32 vcc_lo, v[4:5], v[52:53]
	s_or_not1_b32 s27, vcc_lo, exec_lo
	s_branch .LBB2_59
.LBB2_64:                               ;   in Loop: Header=BB2_36 Depth=1
	s_or_b32 exec_lo, exec_lo, s21
	s_and_saveexec_b32 s21, s22
	s_delay_alu instid0(SALU_CYCLE_1)
	s_xor_b32 s21, exec_lo, s21
	s_cbranch_execz .LBB2_66
; %bb.65:                               ;   in Loop: Header=BB2_36 Depth=1
	ds_store_b32 v0, v1
	s_trap 2
.LBB2_66:                               ;   in Loop: Header=BB2_36 Depth=1
	s_or_b32 exec_lo, exec_lo, s20
	;;#ASMSTART
	s_wakeup
	;;#ASMEND
.LBB2_67:                               ;   in Loop: Header=BB2_36 Depth=1
	s_or_b32 exec_lo, exec_lo, s19
.LBB2_68:                               ;   in Loop: Header=BB2_36 Depth=1
	s_and_not1_saveexec_b32 s9, s9
	s_cbranch_execz .LBB2_70
; %bb.69:                               ;   in Loop: Header=BB2_36 Depth=1
	global_wb scope:SCOPE_DEV
	s_wait_storecnt 0x0
	s_wait_loadcnt_dscnt 0x0
	global_inv scope:SCOPE_DEV
	s_barrier_signal -1
	s_barrier_wait -1
.LBB2_70:                               ;   in Loop: Header=BB2_36 Depth=1
	s_or_b32 exec_lo, exec_lo, s9
.LBB2_71:                               ;   in Loop: Header=BB2_36 Depth=1
	s_delay_alu instid0(SALU_CYCLE_1) | instskip(SKIP_2) | instid1(VALU_DEP_2)
	s_or_b32 exec_lo, exec_lo, s8
	v_dual_sub_nc_u32 v60, v2, v84 :: v_dual_mov_b32 v18, v0
	v_dual_add_nc_u32 v3, 1, v16 :: v_dual_bitop2_b32 v30, 7, v16 bitop3:0x40
	v_cmp_lt_i32_e64 s8, 0, v60
	s_and_saveexec_b32 s9, s8
	s_cbranch_execz .LBB2_79
; %bb.72:                               ;   in Loop: Header=BB2_36 Depth=1
	s_wait_loadcnt_dscnt 0x0
	v_mad_nc_u64_u32 v[112:113], v68, v19, v[98:99]
	v_mul_lo_u32 v4, v30, s16
	v_mul_lo_u32 v18, v68, v19
	v_mov_b32_e32 v116, v60
	s_mov_b32 s19, 0
	s_delay_alu instid0(VALU_DEP_4) | instskip(NEXT) | instid1(VALU_DEP_4)
	v_mad_u32 v2, v69, v19, v113
	v_dual_ashrrev_i32 v19, 31, v19 :: v_dual_ashrrev_i32 v5, 31, v4
	s_delay_alu instid0(VALU_DEP_1) | instskip(NEXT) | instid1(VALU_DEP_2)
	v_lshl_add_u64 v[114:115], v[4:5], 4, v[100:101]
	v_mad_u32 v113, v68, v19, v2
	v_add_lshl_u32 v19, v98, v18, 3
	v_mov_b32_e32 v18, v0
	s_branch .LBB2_74
.LBB2_73:                               ;   in Loop: Header=BB2_74 Depth=2
	s_wait_xcnt 0x0
	s_or_b32 exec_lo, exec_lo, s20
	s_wait_loadcnt 0x0
	v_alignbit_b32 v2, v118, v2, v19
	v_alignbit_b32 v4, v117, v118, v19
	v_dual_mov_b32 v5, v3 :: v_dual_sub_nc_u32 v116, v116, v86
	v_add_nc_u64_e32 v[112:113], v[112:113], v[86:87]
	v_dual_add_nc_u32 v18, v18, v20 :: v_dual_add_nc_u32 v19, v19, v57
	global_store_b128 v[114:115], v[2:5], off
	v_cmp_gt_i32_e32 vcc_lo, 1, v116
	s_wait_xcnt 0x0
	v_add_nc_u64_e32 v[114:115], v[114:115], v[102:103]
	s_or_b32 s19, vcc_lo, s19
	s_delay_alu instid0(SALU_CYCLE_1)
	s_and_not1_b32 exec_lo, exec_lo, s19
	s_cbranch_execz .LBB2_78
.LBB2_74:                               ;   Parent Loop BB2_36 Depth=1
                                        ; =>  This Inner Loop Header: Depth=2
	s_delay_alu instid0(VALU_DEP_3)
	v_dual_mov_b32 v5, v113 :: v_dual_bitop2_b32 v4, -4, v112 bitop3:0x40
	v_min_u32_e32 v54, 8, v116
	v_dual_mov_b32 v118, 0 :: v_dual_bitop2_b32 v117, 3, v112 bitop3:0x40
	s_mov_b32 s20, exec_lo
	global_load_b32 v2, v[4:5], off th:TH_LOAD_NT
	v_dual_mov_b32 v117, 0 :: v_dual_add_nc_u32 v54, v117, v54
	s_wait_xcnt 0x0
	s_delay_alu instid0(VALU_DEP_1)
	v_cmpx_lt_u32_e32 4, v54
	s_cbranch_execz .LBB2_76
; %bb.75:                               ;   in Loop: Header=BB2_74 Depth=2
	global_load_b32 v118, v[4:5], off offset:4 th:TH_LOAD_NT
.LBB2_76:                               ;   in Loop: Header=BB2_74 Depth=2
	s_wait_xcnt 0x0
	s_or_b32 exec_lo, exec_lo, s20
	s_delay_alu instid0(SALU_CYCLE_1)
	s_mov_b32 s20, exec_lo
	v_cmpx_lt_u64_e32 8, v[54:55]
	s_cbranch_execz .LBB2_73
; %bb.77:                               ;   in Loop: Header=BB2_74 Depth=2
	global_load_b32 v117, v[4:5], off offset:8 th:TH_LOAD_NT
	s_branch .LBB2_73
.LBB2_78:                               ;   in Loop: Header=BB2_36 Depth=1
	s_or_b32 exec_lo, exec_lo, s19
.LBB2_79:                               ;   in Loop: Header=BB2_36 Depth=1
	s_delay_alu instid0(SALU_CYCLE_1) | instskip(SKIP_2) | instid1(VALU_DEP_2)
	s_or_b32 exec_lo, exec_lo, s9
	v_and_b32_e32 v54, 0x7ffffff8, v16
	v_cmp_gt_i32_e64 s9, s16, v18
	v_cmp_eq_u64_e32 vcc_lo, 0x7ffffff8, v[54:55]
	s_and_b32 s19, vcc_lo, s9
	s_delay_alu instid0(SALU_CYCLE_1)
	s_and_saveexec_b32 s9, s19
	s_cbranch_execz .LBB2_82
; %bb.80:                               ;   in Loop: Header=BB2_36 Depth=1
	v_mul_lo_u32 v4, v30, s16
	v_mov_b32_e32 v2, v55
	s_mov_b32 s19, 0
	s_wait_loadcnt_dscnt 0x0
	s_delay_alu instid0(VALU_DEP_2) | instskip(NEXT) | instid1(VALU_DEP_1)
	v_dual_ashrrev_i32 v19, 31, v18 :: v_dual_ashrrev_i32 v5, 31, v4
	v_lshlrev_b64_e32 v[4:5], 4, v[4:5]
	s_delay_alu instid0(VALU_DEP_1) | instskip(NEXT) | instid1(VALU_DEP_1)
	v_lshl_add_u64 v[4:5], v[18:19], 4, v[4:5]
	v_add_nc_u64_e32 v[112:113], v[36:37], v[4:5]
.LBB2_81:                               ;   Parent Loop BB2_36 Depth=1
                                        ; =>  This Inner Loop Header: Depth=2
	v_dual_mov_b32 v4, v2 :: v_dual_mov_b32 v5, v3
	v_add_nc_u32_e32 v18, v18, v20
	global_store_b128 v[112:113], v[2:5], off
	v_cmp_le_i32_e32 vcc_lo, s16, v18
	s_wait_xcnt 0x0
	v_add_nc_u64_e32 v[112:113], v[112:113], v[102:103]
	s_or_b32 s19, vcc_lo, s19
	s_delay_alu instid0(SALU_CYCLE_1)
	s_and_not1_b32 exec_lo, exec_lo, s19
	s_cbranch_execnz .LBB2_81
.LBB2_82:                               ;   in Loop: Header=BB2_36 Depth=1
	s_or_b32 exec_lo, exec_lo, s9
	v_add_nc_u64_e32 v[112:113], v[80:81], v[24:25]
	v_add_nc_u64_e32 v[114:115], 1, v[16:17]
	s_and_not1_b32 vcc_lo, exec_lo, s18
	s_cbranch_vccnz .LBB2_676
; %bb.83:                               ;   in Loop: Header=BB2_36 Depth=1
	s_delay_alu instid0(VALU_DEP_2)
	v_add_nc_u64_e32 v[116:117], v[96:97], v[112:113]
	v_add_nc_u16 v62, v16, 1
	s_mov_b32 s19, 2
	s_branch .LBB2_85
.LBB2_84:                               ;   in Loop: Header=BB2_85 Depth=2
	s_or_b32 exec_lo, exec_lo, s9
	v_add_nc_u64_e32 v[34:35], 1, v[34:35]
	v_add_nc_u64_e32 v[114:115], 1, v[114:115]
	v_add_nc_u16 v62, v62, 1
	s_add_co_i32 s19, s19, 1
	s_delay_alu instid0(SALU_CYCLE_1)
	s_cmp_eq_u32 s19, s10
	s_cbranch_scc1 .LBB2_676
.LBB2_85:                               ;   Parent Loop BB2_36 Depth=1
                                        ; =>  This Loop Header: Depth=2
                                        ;       Child Loop BB2_90 Depth 3
                                        ;       Child Loop BB2_109 Depth 3
                                        ;       Child Loop BB2_130 Depth 3
                                        ;         Child Loop BB2_138 Depth 4
                                        ;       Child Loop BB2_665 Depth 3
                                        ;       Child Loop BB2_126 Depth 3
	s_sub_co_i32 s9, s10, s19
	v_readfirstlane_b32 s20, v22
	v_mov_b32_e32 v2, s9
	v_readfirstlane_b32 s21, v23
	flat_load_b32 v4, v2, s[20:21] scale_offset
	s_wait_xcnt 0x0
	s_and_saveexec_b32 s20, s1
	s_cbranch_execz .LBB2_101
; %bb.86:                               ;   in Loop: Header=BB2_85 Depth=2
	v_add_nc_u64_e32 v[2:3], 1, v[14:15]
	s_wait_loadcnt_dscnt 0x101
	v_add_nc_u64_e32 v[16:17], 8, v[64:65]
	s_mov_b32 s21, exec_lo
	s_delay_alu instid0(VALU_DEP_1)
	v_cmpx_lt_u64_e64 v[16:17], v[2:3]
	s_cbranch_execz .LBB2_98
; %bb.87:                               ;   in Loop: Header=BB2_85 Depth=2
	s_mov_b32 s22, 0
	s_mov_b32 s26, 0
	v_cmp_eq_u32_e32 vcc_lo, 0, v59
                                        ; implicit-def: $sgpr23
                                        ; implicit-def: $sgpr24
                                        ; implicit-def: $sgpr25
	s_branch .LBB2_90
.LBB2_88:                               ;   in Loop: Header=BB2_90 Depth=3
	s_or_b32 exec_lo, exec_lo, s41
	s_delay_alu instid0(SALU_CYCLE_1)
	s_and_not1_b32 s9, s25, exec_lo
	s_and_b32 s25, s29, exec_lo
	s_and_not1_b32 s24, s24, exec_lo
	s_and_b32 s28, s28, exec_lo
	s_or_b32 s25, s9, s25
	s_or_b32 s24, s24, s28
.LBB2_89:                               ;   in Loop: Header=BB2_90 Depth=3
	s_or_b32 exec_lo, exec_lo, s27
	s_delay_alu instid0(SALU_CYCLE_1) | instskip(NEXT) | instid1(SALU_CYCLE_1)
	s_and_b32 s9, exec_lo, s24
	s_or_b32 s22, s9, s22
	s_and_not1_b32 s9, s23, exec_lo
	s_and_b32 s23, s25, exec_lo
	s_delay_alu instid0(SALU_CYCLE_1)
	s_or_b32 s23, s9, s23
	s_and_not1_b32 exec_lo, exec_lo, s22
	s_cbranch_execz .LBB2_95
.LBB2_90:                               ;   Parent Loop BB2_36 Depth=1
                                        ;     Parent Loop BB2_85 Depth=2
                                        ; =>    This Inner Loop Header: Depth=3
	s_sleep 1
	s_wait_loadcnt_dscnt 0x0
	flat_load_b64 v[64:65], v[50:51] scope:SCOPE_DEV
	v_mov_b32_e32 v59, 1
	s_or_b32 s25, s25, exec_lo
	s_or_b32 s24, s24, exec_lo
                                        ; implicit-def: $vgpr5
	s_wait_xcnt 0x0
	s_and_saveexec_b32 s27, vcc_lo
	s_cbranch_execz .LBB2_89
; %bb.91:                               ;   in Loop: Header=BB2_90 Depth=3
	s_add_co_i32 s26, s26, 1
	s_mov_b32 s28, -1
	s_cmp_lg_u32 s26, 0x2710
	s_mov_b32 s29, -1
	s_cselect_b32 s40, -1, 0
	s_cmp_eq_u32 s26, 0x2710
                                        ; implicit-def: $vgpr5
	s_cbranch_scc1 .LBB2_93
; %bb.92:                               ;   in Loop: Header=BB2_90 Depth=3
	v_mov_b32_e32 v59, 1
	s_and_saveexec_b32 s41, s40
	s_cbranch_execz .LBB2_88
	s_branch .LBB2_94
.LBB2_93:                               ;   in Loop: Header=BB2_90 Depth=3
	s_trap 2
	ds_load_b64 v[16:17], v0
	s_and_not1_b32 s26, s40, exec_lo
	s_mov_b32 s29, 0
	s_wait_storecnt 0x0
	s_wait_loadcnt_dscnt 0x0
	flat_load_b32 v5, v[16:17] scope:SCOPE_SYS
	s_wait_loadcnt_dscnt 0x0
	global_inv scope:SCOPE_SYS
	v_cmp_eq_u32_e64 s9, 0, v5
	s_and_b32 s9, s9, exec_lo
	s_delay_alu instid0(SALU_CYCLE_1)
	s_or_b32 s40, s26, s9
	s_mov_b32 s26, 0
	v_mov_b32_e32 v59, 1
	s_and_saveexec_b32 s41, s40
	s_cbranch_execz .LBB2_88
.LBB2_94:                               ;   in Loop: Header=BB2_90 Depth=3
	s_wait_loadcnt_dscnt 0x0
	v_add_nc_u64_e32 v[16:17], 8, v[64:65]
	v_mov_b32_e32 v59, 0
	s_or_b32 s29, s29, exec_lo
	s_delay_alu instid0(VALU_DEP_2)
	v_cmp_ge_u64_e64 s9, v[16:17], v[2:3]
	s_or_not1_b32 s28, s9, exec_lo
	s_branch .LBB2_88
.LBB2_95:                               ;   in Loop: Header=BB2_85 Depth=2
	s_or_b32 exec_lo, exec_lo, s22
	s_xor_b32 s9, s23, -1
	s_delay_alu instid0(SALU_CYCLE_1) | instskip(NEXT) | instid1(SALU_CYCLE_1)
	s_and_saveexec_b32 s22, s9
	s_xor_b32 s9, exec_lo, s22
	s_cbranch_execz .LBB2_97
; %bb.96:                               ;   in Loop: Header=BB2_85 Depth=2
	v_mov_b32_e32 v59, 1
	s_wait_storecnt 0x0
	s_wait_loadcnt_dscnt 0x0
	ds_store_b32 v0, v5
	s_trap 2
.LBB2_97:                               ;   in Loop: Header=BB2_85 Depth=2
	s_or_b32 exec_lo, exec_lo, s9
.LBB2_98:                               ;   in Loop: Header=BB2_85 Depth=2
	s_delay_alu instid0(SALU_CYCLE_1)
	s_or_b32 exec_lo, exec_lo, s21
	s_and_saveexec_b32 s9, s2
	s_cbranch_execz .LBB2_100
; %bb.99:                               ;   in Loop: Header=BB2_85 Depth=2
	v_and_b32_e32 v54, 0x7ffffff8, v14
	s_delay_alu instid0(VALU_DEP_1) | instskip(SKIP_1) | instid1(VALU_DEP_1)
	v_cmp_eq_u64_e32 vcc_lo, 0x7ffffff8, v[54:55]
	v_cndmask_b32_e64 v16, v61, s11, vcc_lo
	v_dual_ashrrev_i32 v17, 31, v16 :: v_dual_bitop2_b32 v5, 7, v14 bitop3:0x40
	s_delay_alu instid0(VALU_DEP_1)
	v_mad_nc_u64_u32 v[14:15], v5, 24, v[12:13]
	flat_store_b64 v[14:15], v[16:17] offset:8 scope:SCOPE_SYS
	s_wait_storecnt 0x0
.LBB2_100:                              ;   in Loop: Header=BB2_85 Depth=2
	s_wait_xcnt 0x0
	s_or_b32 exec_lo, exec_lo, s9
	v_mov_b64_e32 v[14:15], v[2:3]
.LBB2_101:                              ;   in Loop: Header=BB2_85 Depth=2
	s_or_b32 exec_lo, exec_lo, s20
	s_and_saveexec_b32 s9, s3
	s_cbranch_execz .LBB2_120
; %bb.102:                              ;   in Loop: Header=BB2_85 Depth=2
	s_and_saveexec_b32 s20, s4
	s_delay_alu instid0(SALU_CYCLE_1)
	s_xor_b32 s20, exec_lo, s20
	s_cbranch_execz .LBB2_117
; %bb.103:                              ;   in Loop: Header=BB2_85 Depth=2
	s_and_saveexec_b32 s21, s5
	s_cbranch_execz .LBB2_116
; %bb.104:                              ;   in Loop: Header=BB2_85 Depth=2
	s_mov_b32 s23, exec_lo
	s_mov_b32 s22, exec_lo
	v_mbcnt_lo_u32_b32 v2, s23, 0
	global_wb scope:SCOPE_DEV
	s_wait_storecnt 0x0
	s_wait_loadcnt_dscnt 0x0
	global_inv scope:SCOPE_DEV
	v_cmpx_eq_u32_e32 0, v2
	s_cbranch_execz .LBB2_106
; %bb.105:                              ;   in Loop: Header=BB2_85 Depth=2
	s_bcnt1_i32_b32 s23, s23
	s_delay_alu instid0(SALU_CYCLE_1)
	v_mov_b32_e32 v54, s23
	s_wait_loadcnt 0x0
	ds_add_u64 v0, v[54:55]
	s_trap 2
.LBB2_106:                              ;   in Loop: Header=BB2_85 Depth=2
	s_or_b32 exec_lo, exec_lo, s22
	s_trap 2
	ds_load_b64 v[2:3], v0
	s_wait_dscnt 0x0
	v_add_nc_u64_e32 v[52:53], v[52:53], v[82:83]
	s_mov_b32 s22, exec_lo
	s_delay_alu instid0(VALU_DEP_1)
	v_cmpx_lt_u64_e64 v[2:3], v[52:53]
	s_cbranch_execz .LBB2_115
; %bb.107:                              ;   in Loop: Header=BB2_85 Depth=2
	s_mov_b32 s23, 0
	s_mov_b32 s26, 0
                                        ; implicit-def: $sgpr24
                                        ; implicit-def: $sgpr25
	s_branch .LBB2_109
.LBB2_108:                              ;   in Loop: Header=BB2_109 Depth=3
	s_or_b32 exec_lo, exec_lo, s28
	s_delay_alu instid0(SALU_CYCLE_1) | instskip(NEXT) | instid1(SALU_CYCLE_1)
	s_and_b32 s27, exec_lo, s29
	s_or_b32 s23, s27, s23
	s_and_not1_b32 s24, s24, exec_lo
	s_and_b32 s27, s25, exec_lo
	s_delay_alu instid0(SALU_CYCLE_1)
	s_or_b32 s24, s24, s27
	s_and_not1_b32 exec_lo, exec_lo, s23
	s_cbranch_execz .LBB2_113
.LBB2_109:                              ;   Parent Loop BB2_36 Depth=1
                                        ;     Parent Loop BB2_85 Depth=2
                                        ; =>    This Inner Loop Header: Depth=3
	s_add_co_i32 s26, s26, 1
	s_delay_alu instid0(SALU_CYCLE_1) | instskip(SKIP_1) | instid1(SALU_CYCLE_1)
	s_cmp_lg_u32 s26, 0x2710
	s_cselect_b32 s27, -1, 0
	s_and_b32 vcc_lo, exec_lo, s27
	s_cbranch_vccz .LBB2_111
; %bb.110:                              ;   in Loop: Header=BB2_109 Depth=3
	s_mov_b32 s29, -1
	s_or_b32 s25, s25, exec_lo
	s_and_saveexec_b32 s28, s27
	s_cbranch_execz .LBB2_108
	s_branch .LBB2_112
.LBB2_111:                              ;   in Loop: Header=BB2_109 Depth=3
	s_trap 2
	ds_load_b64 v[2:3], v0
	s_and_not1_b32 s27, s27, exec_lo
	s_mov_b32 s26, 0
	s_wait_loadcnt_dscnt 0x0
	flat_load_b32 v2, v[2:3] scope:SCOPE_SYS
	s_wait_loadcnt_dscnt 0x0
	global_inv scope:SCOPE_SYS
	v_cmp_eq_u32_e32 vcc_lo, 0, v2
	s_and_b32 s28, vcc_lo, exec_lo
	s_delay_alu instid0(SALU_CYCLE_1)
	s_or_b32 s27, s27, s28
	s_mov_b32 s29, -1
	s_or_b32 s25, s25, exec_lo
	s_and_saveexec_b32 s28, s27
	s_cbranch_execz .LBB2_108
.LBB2_112:                              ;   in Loop: Header=BB2_109 Depth=3
	s_sleep 1
	s_trap 2
	ds_load_b64 v[2:3], v0
	s_wait_dscnt 0x0
	s_and_not1_b32 s25, s25, exec_lo
	v_cmp_ge_u64_e32 vcc_lo, v[2:3], v[52:53]
	s_or_not1_b32 s29, vcc_lo, exec_lo
	s_branch .LBB2_108
.LBB2_113:                              ;   in Loop: Header=BB2_85 Depth=2
	s_or_b32 exec_lo, exec_lo, s23
	s_and_saveexec_b32 s23, s24
	s_delay_alu instid0(SALU_CYCLE_1)
	s_xor_b32 s23, exec_lo, s23
	s_cbranch_execz .LBB2_115
; %bb.114:                              ;   in Loop: Header=BB2_85 Depth=2
	ds_store_b32 v0, v1
	s_trap 2
.LBB2_115:                              ;   in Loop: Header=BB2_85 Depth=2
	s_or_b32 exec_lo, exec_lo, s22
	;;#ASMSTART
	s_wakeup
	;;#ASMEND
.LBB2_116:                              ;   in Loop: Header=BB2_85 Depth=2
	s_or_b32 exec_lo, exec_lo, s21
.LBB2_117:                              ;   in Loop: Header=BB2_85 Depth=2
	s_and_not1_saveexec_b32 s20, s20
	s_cbranch_execz .LBB2_119
; %bb.118:                              ;   in Loop: Header=BB2_85 Depth=2
	global_wb scope:SCOPE_DEV
	s_wait_storecnt 0x0
	s_wait_loadcnt_dscnt 0x0
	global_inv scope:SCOPE_DEV
	s_barrier_signal -1
	s_barrier_wait -1
.LBB2_119:                              ;   in Loop: Header=BB2_85 Depth=2
	s_or_b32 exec_lo, exec_lo, s20
.LBB2_120:                              ;   in Loop: Header=BB2_85 Depth=2
	s_delay_alu instid0(SALU_CYCLE_1)
	s_or_b32 exec_lo, exec_lo, s9
	v_dual_mov_b32 v54, v0 :: v_dual_add_nc_u32 v3, 1, v114
	s_and_saveexec_b32 s20, s8
	s_cbranch_execnz .LBB2_127
; %bb.121:                              ;   in Loop: Header=BB2_85 Depth=2
	s_or_b32 exec_lo, exec_lo, s20
	s_and_saveexec_b32 s9, s3
	s_cbranch_execnz .LBB2_658
.LBB2_122:                              ;   in Loop: Header=BB2_85 Depth=2
	s_or_b32 exec_lo, exec_lo, s9
	s_and_saveexec_b32 s9, s7
	s_cbranch_execz .LBB2_124
.LBB2_123:                              ;   in Loop: Header=BB2_85 Depth=2
	v_add_nc_u64_e32 v[38:39], 1, v[38:39]
	global_wb scope:SCOPE_SYS
	s_wait_storecnt 0x0
	s_wait_loadcnt_dscnt 0x0
	flat_store_b64 v[48:49], v[38:39] scope:SCOPE_SYS
.LBB2_124:                              ;   in Loop: Header=BB2_85 Depth=2
	s_wait_xcnt 0x0
	s_or_b32 exec_lo, exec_lo, s9
	s_wait_loadcnt_dscnt 0x0
	v_and_b32_e32 v4, 0x7ffffff8, v114
	v_mov_b32_e32 v5, v55
	v_cmp_gt_i32_e64 s9, s16, v54
	s_delay_alu instid0(VALU_DEP_2) | instskip(SKIP_1) | instid1(SALU_CYCLE_1)
	v_cmp_eq_u64_e32 vcc_lo, 0x7ffffff8, v[4:5]
	s_and_b32 s20, vcc_lo, s9
	s_and_saveexec_b32 s9, s20
	s_cbranch_execz .LBB2_84
; %bb.125:                              ;   in Loop: Header=BB2_85 Depth=2
	v_and_b32_e32 v2, 7, v62
	v_dual_mov_b32 v16, v54 :: v_dual_ashrrev_i32 v17, 31, v54
	s_mov_b32 s20, 0
	s_delay_alu instid0(VALU_DEP_2) | instskip(NEXT) | instid1(VALU_DEP_1)
	v_mul_lo_u32 v4, s16, v2
	v_dual_mov_b32 v2, v55 :: v_dual_ashrrev_i32 v5, 31, v4
	s_delay_alu instid0(VALU_DEP_1) | instskip(NEXT) | instid1(VALU_DEP_1)
	v_lshlrev_b64_e32 v[4:5], 4, v[4:5]
	v_lshl_add_u64 v[4:5], v[16:17], 4, v[4:5]
	s_delay_alu instid0(VALU_DEP_1)
	v_add_nc_u64_e32 v[16:17], v[36:37], v[4:5]
.LBB2_126:                              ;   Parent Loop BB2_36 Depth=1
                                        ;     Parent Loop BB2_85 Depth=2
                                        ; =>    This Inner Loop Header: Depth=3
	s_delay_alu instid0(VALU_DEP_4)
	v_dual_mov_b32 v4, v2 :: v_dual_mov_b32 v5, v3
	v_add_nc_u32_e32 v54, v54, v20
	global_store_b128 v[16:17], v[2:5], off
	v_cmp_le_i32_e32 vcc_lo, s16, v54
	s_wait_xcnt 0x0
	v_add_nc_u64_e32 v[16:17], v[16:17], v[102:103]
	s_or_b32 s20, vcc_lo, s20
	s_delay_alu instid0(SALU_CYCLE_1)
	s_and_not1_b32 exec_lo, exec_lo, s20
	s_cbranch_execnz .LBB2_126
	s_branch .LBB2_84
.LBB2_127:                              ;   in Loop: Header=BB2_85 Depth=2
	v_and_b32_e32 v2, 7, v34
	s_wait_loadcnt_dscnt 0x0
	v_mad_nc_u64_u32 v[118:119], v68, v4, v[116:117]
	v_dual_mov_b32 v54, v0 :: v_dual_add_nc_u32 v63, 1, v34
	s_mov_b32 s21, 0
	v_mul_lo_u32 v16, v2, s16
	v_dual_mov_b32 v72, v60 :: v_dual_bitop2_b32 v5, 7, v114 bitop3:0x40
	s_delay_alu instid0(VALU_DEP_4) | instskip(SKIP_1) | instid1(VALU_DEP_4)
	v_mad_u32 v2, v69, v4, v119
	v_ashrrev_i32_e32 v4, 31, v4
	v_ashrrev_i32_e32 v17, 31, v16
	s_delay_alu instid0(VALU_DEP_4) | instskip(NEXT) | instid1(VALU_DEP_2)
	v_mul_lo_u32 v18, v5, s16
	v_lshl_add_u64 v[40:41], v[16:17], 4, v[32:33]
	s_delay_alu instid0(VALU_DEP_4) | instskip(NEXT) | instid1(VALU_DEP_3)
	v_mad_u32 v119, v68, v4, v2
	v_ashrrev_i32_e32 v19, 31, v18
	s_delay_alu instid0(VALU_DEP_1)
	v_lshl_add_u64 v[42:43], v[18:19], 4, v[36:37]
	s_branch .LBB2_130
.LBB2_128:                              ;   in Loop: Header=BB2_130 Depth=3
	s_or_b32 exec_lo, exec_lo, s22
.LBB2_129:                              ;   in Loop: Header=BB2_130 Depth=3
	s_delay_alu instid0(SALU_CYCLE_1) | instskip(SKIP_4) | instid1(VALU_DEP_3)
	s_or_b32 exec_lo, exec_lo, s9
	v_dual_lshlrev_b32 v2, 8, v74 :: v_dual_lshlrev_b32 v5, 8, v76
	v_dual_lshlrev_b32 v4, 16, v46 :: v_dual_lshlrev_b32 v17, 16, v77
	v_dual_lshlrev_b32 v18, 24, v47 :: v_dual_sub_nc_u32 v72, v72, v86
	v_add_nc_u64_e32 v[118:119], v[118:119], v[86:87]
	v_or3_b32 v2, v2, v73, v4
	v_lshlrev_b32_e32 v4, 24, v16
	v_or3_b32 v5, v5, v75, v17
	v_lshl_add_u64 v[16:17], v[54:55], 4, v[42:43]
	v_add_nc_u32_e32 v54, v54, v20
	v_or3_b32 v2, v2, v18, 0
	s_delay_alu instid0(VALU_DEP_4)
	v_or3_b32 v4, v5, v4, 0
	v_mov_b32_e32 v5, v3
	v_cmp_gt_i32_e32 vcc_lo, 1, v72
	global_store_b128 v[16:17], v[2:5], off
	s_or_b32 s21, vcc_lo, s21
	s_wait_xcnt 0x0
	s_and_not1_b32 exec_lo, exec_lo, s21
	s_cbranch_execz .LBB2_657
.LBB2_130:                              ;   Parent Loop BB2_36 Depth=1
                                        ;     Parent Loop BB2_85 Depth=2
                                        ; =>    This Loop Header: Depth=3
                                        ;         Child Loop BB2_138 Depth 4
	s_delay_alu instid0(VALU_DEP_3)
	v_dual_mov_b32 v5, v119 :: v_dual_bitop2_b32 v4, -4, v118 bitop3:0x40
	v_min_u32_e32 v16, 8, v72
	v_dual_mov_b32 v75, 0 :: v_dual_bitop2_b32 v17, 3, v118 bitop3:0x40
	v_mov_b32_e32 v76, 0
	global_load_b32 v2, v[4:5], off th:TH_LOAD_NT
	s_mov_b32 s9, exec_lo
	v_add_nc_u32_e32 v16, v17, v16
	s_wait_xcnt 0x0
	s_delay_alu instid0(VALU_DEP_1)
	v_cmpx_lt_u32_e32 4, v16
	s_cbranch_execz .LBB2_132
; %bb.131:                              ;   in Loop: Header=BB2_130 Depth=3
	global_load_b32 v76, v[4:5], off offset:4 th:TH_LOAD_NT
.LBB2_132:                              ;   in Loop: Header=BB2_130 Depth=3
	s_wait_xcnt 0x0
	s_or_b32 exec_lo, exec_lo, s9
	v_mov_b32_e32 v17, v55
	s_mov_b32 s9, exec_lo
	s_delay_alu instid0(VALU_DEP_1)
	v_cmpx_lt_u64_e32 8, v[16:17]
	s_cbranch_execz .LBB2_134
; %bb.133:                              ;   in Loop: Header=BB2_130 Depth=3
	global_load_b32 v75, v[4:5], off offset:8 th:TH_LOAD_NT
.LBB2_134:                              ;   in Loop: Header=BB2_130 Depth=3
	s_wait_xcnt 0x0
	s_or_b32 exec_lo, exec_lo, s9
	v_lshl_add_u64 v[4:5], v[54:55], 4, v[40:41]
	v_cmp_eq_u32_e32 vcc_lo, 0, v59
	v_mov_b32_e32 v59, 1
	global_load_b128 v[16:19], v[4:5], off th:TH_LOAD_NT
	s_wait_xcnt 0x0
	s_and_saveexec_b32 s22, vcc_lo
	s_cbranch_execz .LBB2_146
; %bb.135:                              ;   in Loop: Header=BB2_130 Depth=3
	s_wait_loadcnt 0x0
	v_cmp_ne_u32_e32 vcc_lo, v63, v17
	v_cmp_ne_u32_e64 s9, v63, v19
	v_mov_b32_e32 v59, 0
	s_or_b32 s9, vcc_lo, s9
	s_delay_alu instid0(SALU_CYCLE_1)
	s_and_saveexec_b32 s23, s9
	s_cbranch_execz .LBB2_145
; %bb.136:                              ;   in Loop: Header=BB2_130 Depth=3
	s_mov_b32 s27, 1
	s_mov_b32 s25, 0
                                        ; implicit-def: $sgpr24
                                        ; implicit-def: $sgpr26
	s_branch .LBB2_138
.LBB2_137:                              ;   in Loop: Header=BB2_138 Depth=4
	s_or_b32 exec_lo, exec_lo, s29
	s_delay_alu instid0(SALU_CYCLE_1) | instskip(NEXT) | instid1(SALU_CYCLE_1)
	s_and_b32 s9, exec_lo, s9
	s_or_b32 s25, s9, s25
	s_and_not1_b32 s9, s24, exec_lo
	s_and_b32 s24, s26, exec_lo
	s_delay_alu instid0(SALU_CYCLE_1)
	s_or_b32 s24, s9, s24
	s_and_not1_b32 exec_lo, exec_lo, s25
	s_cbranch_execz .LBB2_142
.LBB2_138:                              ;   Parent Loop BB2_36 Depth=1
                                        ;     Parent Loop BB2_85 Depth=2
                                        ;       Parent Loop BB2_130 Depth=3
                                        ; =>      This Inner Loop Header: Depth=4
	s_wait_loadcnt 0x0
	global_load_b128 v[16:19], v[4:5], off th:TH_LOAD_NT
	s_add_co_i32 s27, s27, 1
	s_mov_b32 s9, -1
	s_cmp_lg_u32 s27, 0x2710
	s_mov_b32 s28, -1
                                        ; implicit-def: $vgpr30
	s_cbranch_scc0 .LBB2_140
; %bb.139:                              ;   in Loop: Header=BB2_138 Depth=4
	s_or_b32 s26, s26, exec_lo
	s_wait_xcnt 0x0
	s_and_saveexec_b32 s29, s28
	s_cbranch_execz .LBB2_137
	s_branch .LBB2_141
.LBB2_140:                              ;   in Loop: Header=BB2_138 Depth=4
	s_trap 2
	ds_load_b64 v[44:45], v0
	s_mov_b32 s27, 0
	s_wait_storecnt 0x0
	s_wait_loadcnt_dscnt 0x0
	flat_load_b32 v30, v[44:45] scope:SCOPE_SYS
	s_wait_loadcnt_dscnt 0x0
	global_inv scope:SCOPE_SYS
	v_cmp_eq_u32_e32 vcc_lo, 0, v30
	s_or_not1_b32 s28, vcc_lo, exec_lo
	s_or_b32 s26, s26, exec_lo
	s_wait_xcnt 0x0
	s_and_saveexec_b32 s29, s28
	s_cbranch_execz .LBB2_137
.LBB2_141:                              ;   in Loop: Header=BB2_138 Depth=4
	s_wait_loadcnt 0x0
	v_cmp_eq_u32_e32 vcc_lo, v63, v17
	v_cmp_eq_u32_e64 s9, v63, v19
	s_and_not1_b32 s26, s26, exec_lo
	s_and_b32 s9, vcc_lo, s9
	s_delay_alu instid0(SALU_CYCLE_1)
	s_or_not1_b32 s9, s9, exec_lo
	s_branch .LBB2_137
.LBB2_142:                              ;   in Loop: Header=BB2_130 Depth=3
	s_or_b32 exec_lo, exec_lo, s25
	v_mov_b32_e32 v59, 0
	s_and_saveexec_b32 s9, s24
	s_delay_alu instid0(SALU_CYCLE_1)
	s_xor_b32 s9, exec_lo, s9
	s_cbranch_execz .LBB2_144
; %bb.143:                              ;   in Loop: Header=BB2_130 Depth=3
	v_mov_b32_e32 v59, 1
	s_wait_loadcnt 0x0
	s_wait_storecnt 0x0
	ds_store_b32 v0, v30
	s_trap 2
.LBB2_144:                              ;   in Loop: Header=BB2_130 Depth=3
	s_or_b32 exec_lo, exec_lo, s9
.LBB2_145:                              ;   in Loop: Header=BB2_130 Depth=3
	s_delay_alu instid0(SALU_CYCLE_1)
	s_or_b32 exec_lo, exec_lo, s23
.LBB2_146:                              ;   in Loop: Header=BB2_130 Depth=3
	s_delay_alu instid0(SALU_CYCLE_1) | instskip(SKIP_4) | instid1(VALU_DEP_3)
	s_or_b32 exec_lo, exec_lo, s22
	v_dual_lshlrev_b32 v77, 3, v118 :: v_dual_mov_b32 v5, v55
	s_wait_loadcnt 0x0
	v_and_b32_e32 v30, 0xff, v16
	v_bfe_i32 v45, v16, 0, 8
	v_alignbit_b32 v4, v76, v2, v77
	s_delay_alu instid0(VALU_DEP_3) | instskip(NEXT) | instid1(VALU_DEP_2)
	v_cmp_ne_u16_e32 vcc_lo, 0, v30
                                        ; implicit-def: $vgpr30
	v_bfe_i32 v2, v4, 0, 8
	s_and_saveexec_b32 s9, s6
	s_delay_alu instid0(SALU_CYCLE_1)
	s_xor_b32 s22, exec_lo, s9
	s_cbranch_execz .LBB2_168
; %bb.147:                              ;   in Loop: Header=BB2_130 Depth=3
	v_dual_mov_b32 v44, 0 :: v_dual_mov_b32 v30, 0
	s_and_saveexec_b32 s23, vcc_lo
	s_cbranch_execz .LBB2_157
; %bb.148:                              ;   in Loop: Header=BB2_130 Depth=3
	v_bfrev_b32_e32 v30, 1
	s_mov_b32 s24, exec_lo
	v_cmpx_ne_u16_e32 0xff80, v45
	s_cbranch_execz .LBB2_156
; %bb.149:                              ;   in Loop: Header=BB2_130 Depth=3
	v_and_b32_e32 v30, 0x7c, v16
	v_and_b32_e32 v46, 3, v16
	s_delay_alu instid0(VALU_DEP_2) | instskip(SKIP_1) | instid1(SALU_CYCLE_1)
	v_cmp_ne_u32_e64 s9, 0x7c, v30
                                        ; implicit-def: $vgpr30
	s_and_saveexec_b32 s25, s9
	s_xor_b32 s25, exec_lo, s25
	s_cbranch_execz .LBB2_153
; %bb.150:                              ;   in Loop: Header=BB2_130 Depth=3
	v_bfe_u32 v30, v16, 2, 5
	s_mov_b32 s26, exec_lo
	s_delay_alu instid0(VALU_DEP_1)
	v_cmpx_eq_u32_e32 0, v30
; %bb.151:                              ;   in Loop: Header=BB2_130 Depth=3
	v_clz_i32_u32_e32 v30, v46
	s_delay_alu instid0(VALU_DEP_1) | instskip(NEXT) | instid1(VALU_DEP_1)
	v_min_u32_e32 v30, 32, v30
	v_subrev_nc_u32_e32 v45, 29, v30
	v_sub_nc_u32_e32 v30, 30, v30
	s_delay_alu instid0(VALU_DEP_2) | instskip(NEXT) | instid1(VALU_DEP_1)
	v_lshlrev_b64_e32 v[46:47], v45, v[16:17]
	v_and_b32_e32 v46, 3, v46
; %bb.152:                              ;   in Loop: Header=BB2_130 Depth=3
	s_or_b32 exec_lo, exec_lo, s26
	v_lshlrev_b32_e32 v45, 24, v16
	s_delay_alu instid0(VALU_DEP_1) | instskip(NEXT) | instid1(VALU_DEP_1)
	v_and_b32_e32 v45, 0x80000000, v45
	v_lshl_add_u32 v30, v30, 23, v45
                                        ; implicit-def: $vgpr45
	s_delay_alu instid0(VALU_DEP_1) | instskip(NEXT) | instid1(VALU_DEP_1)
	v_lshl_or_b32 v30, v46, 21, v30
                                        ; implicit-def: $vgpr46
	v_add_nc_u32_e32 v30, 0x38000000, v30
.LBB2_153:                              ;   in Loop: Header=BB2_130 Depth=3
	s_and_not1_saveexec_b32 s25, s25
; %bb.154:                              ;   in Loop: Header=BB2_130 Depth=3
	v_cmp_lt_i16_e64 s9, -1, v45
	s_delay_alu instid0(VALU_DEP_1) | instskip(SKIP_1) | instid1(VALU_DEP_1)
	v_cndmask_b32_e64 v30, 0xff800000, v21, s9
	v_cmp_eq_u32_e64 s9, 0, v46
	v_cndmask_b32_e64 v30, 0x7f800001, v30, s9
; %bb.155:                              ;   in Loop: Header=BB2_130 Depth=3
	s_or_b32 exec_lo, exec_lo, s25
.LBB2_156:                              ;   in Loop: Header=BB2_130 Depth=3
	s_delay_alu instid0(SALU_CYCLE_1)
	s_or_b32 exec_lo, exec_lo, s24
.LBB2_157:                              ;   in Loop: Header=BB2_130 Depth=3
	s_delay_alu instid0(SALU_CYCLE_1) | instskip(NEXT) | instid1(SALU_CYCLE_1)
	s_or_b32 exec_lo, exec_lo, s23
	s_mov_b32 s23, exec_lo
	v_cmpx_ne_u16_e32 0, v2
	s_cbranch_execz .LBB2_167
; %bb.158:                              ;   in Loop: Header=BB2_130 Depth=3
	v_bfrev_b32_e32 v44, 1
	s_mov_b32 s24, exec_lo
	v_cmpx_ne_u16_e32 0xff80, v2
	s_cbranch_execz .LBB2_166
; %bb.159:                              ;   in Loop: Header=BB2_130 Depth=3
	v_and_b32_e32 v44, 0x7c, v4
	v_and_b32_e32 v45, 3, v4
	s_delay_alu instid0(VALU_DEP_2) | instskip(SKIP_1) | instid1(SALU_CYCLE_1)
	v_cmp_ne_u32_e64 s9, 0x7c, v44
                                        ; implicit-def: $vgpr44
	s_and_saveexec_b32 s25, s9
	s_xor_b32 s25, exec_lo, s25
	s_cbranch_execz .LBB2_163
; %bb.160:                              ;   in Loop: Header=BB2_130 Depth=3
	v_bfe_u32 v2, v4, 2, 5
	s_mov_b32 s26, exec_lo
	s_delay_alu instid0(VALU_DEP_1)
	v_cmpx_eq_u32_e32 0, v2
; %bb.161:                              ;   in Loop: Header=BB2_130 Depth=3
	v_clz_i32_u32_e32 v2, v45
	s_delay_alu instid0(VALU_DEP_1) | instskip(NEXT) | instid1(VALU_DEP_1)
	v_min_u32_e32 v2, 32, v2
	v_subrev_nc_u32_e32 v44, 29, v2
	s_delay_alu instid0(VALU_DEP_1) | instskip(NEXT) | instid1(VALU_DEP_1)
	v_lshlrev_b64_e32 v[44:45], v44, v[4:5]
	v_dual_sub_nc_u32 v2, 30, v2 :: v_dual_bitop2_b32 v45, 3, v44 bitop3:0x40
; %bb.162:                              ;   in Loop: Header=BB2_130 Depth=3
	s_or_b32 exec_lo, exec_lo, s26
	v_lshlrev_b32_e32 v44, 24, v4
	s_delay_alu instid0(VALU_DEP_1) | instskip(NEXT) | instid1(VALU_DEP_1)
	v_and_b32_e32 v44, 0x80000000, v44
	v_lshl_add_u32 v2, v2, 23, v44
	s_delay_alu instid0(VALU_DEP_1) | instskip(NEXT) | instid1(VALU_DEP_1)
	v_lshl_or_b32 v2, v45, 21, v2
                                        ; implicit-def: $vgpr45
	v_add_nc_u32_e32 v44, 0x38000000, v2
                                        ; implicit-def: $vgpr2
.LBB2_163:                              ;   in Loop: Header=BB2_130 Depth=3
	s_and_not1_saveexec_b32 s25, s25
; %bb.164:                              ;   in Loop: Header=BB2_130 Depth=3
	v_cmp_lt_i16_e64 s9, -1, v2
	s_delay_alu instid0(VALU_DEP_1) | instskip(SKIP_1) | instid1(VALU_DEP_1)
	v_cndmask_b32_e64 v2, 0xff800000, v21, s9
	v_cmp_eq_u32_e64 s9, 0, v45
	v_cndmask_b32_e64 v44, 0x7f800001, v2, s9
; %bb.165:                              ;   in Loop: Header=BB2_130 Depth=3
	s_or_b32 exec_lo, exec_lo, s25
.LBB2_166:                              ;   in Loop: Header=BB2_130 Depth=3
	s_delay_alu instid0(SALU_CYCLE_1)
	s_or_b32 exec_lo, exec_lo, s24
.LBB2_167:                              ;   in Loop: Header=BB2_130 Depth=3
	s_delay_alu instid0(SALU_CYCLE_1) | instskip(NEXT) | instid1(VALU_DEP_1)
	s_or_b32 exec_lo, exec_lo, s23
	v_dual_max_num_f32 v2, v44, v44 :: v_dual_max_num_f32 v30, v30, v30
                                        ; implicit-def: $vgpr45
	s_delay_alu instid0(VALU_DEP_1)
	v_max_num_f32_e32 v30, v30, v2
                                        ; implicit-def: $vgpr2
.LBB2_168:                              ;   in Loop: Header=BB2_130 Depth=3
	s_and_not1_saveexec_b32 s9, s22
	s_cbranch_execz .LBB2_190
; %bb.169:                              ;   in Loop: Header=BB2_130 Depth=3
	v_dual_mov_b32 v44, 0 :: v_dual_mov_b32 v30, 0
	s_and_saveexec_b32 s22, vcc_lo
	s_cbranch_execz .LBB2_179
; %bb.170:                              ;   in Loop: Header=BB2_130 Depth=3
	v_bfrev_b32_e32 v30, 1
	s_mov_b32 s23, exec_lo
	v_cmpx_ne_u16_e32 0xff80, v45
	s_cbranch_execz .LBB2_178
; %bb.171:                              ;   in Loop: Header=BB2_130 Depth=3
	v_and_b32_e32 v30, 0x7c, v16
	v_and_b32_e32 v46, 3, v16
	s_delay_alu instid0(VALU_DEP_2) | instskip(SKIP_1) | instid1(SALU_CYCLE_1)
	v_cmp_ne_u32_e32 vcc_lo, 0x7c, v30
                                        ; implicit-def: $vgpr30
	s_and_saveexec_b32 s24, vcc_lo
	s_xor_b32 s24, exec_lo, s24
	s_cbranch_execz .LBB2_175
; %bb.172:                              ;   in Loop: Header=BB2_130 Depth=3
	v_bfe_u32 v30, v16, 2, 5
	s_mov_b32 s25, exec_lo
	s_delay_alu instid0(VALU_DEP_1)
	v_cmpx_eq_u32_e32 0, v30
; %bb.173:                              ;   in Loop: Header=BB2_130 Depth=3
	v_clz_i32_u32_e32 v30, v46
	s_delay_alu instid0(VALU_DEP_1) | instskip(NEXT) | instid1(VALU_DEP_1)
	v_min_u32_e32 v30, 32, v30
	v_subrev_nc_u32_e32 v45, 29, v30
	v_sub_nc_u32_e32 v30, 30, v30
	s_delay_alu instid0(VALU_DEP_2) | instskip(NEXT) | instid1(VALU_DEP_1)
	v_lshlrev_b64_e32 v[46:47], v45, v[16:17]
	v_and_b32_e32 v46, 3, v46
; %bb.174:                              ;   in Loop: Header=BB2_130 Depth=3
	s_or_b32 exec_lo, exec_lo, s25
	v_lshlrev_b32_e32 v17, 24, v16
                                        ; implicit-def: $vgpr45
	s_delay_alu instid0(VALU_DEP_1) | instskip(NEXT) | instid1(VALU_DEP_1)
	v_and_b32_e32 v17, 0x80000000, v17
	v_lshl_add_u32 v17, v30, 23, v17
	s_delay_alu instid0(VALU_DEP_1) | instskip(NEXT) | instid1(VALU_DEP_1)
	v_lshl_or_b32 v17, v46, 21, v17
                                        ; implicit-def: $vgpr46
	v_add_nc_u32_e32 v30, 0x38000000, v17
.LBB2_175:                              ;   in Loop: Header=BB2_130 Depth=3
	s_and_not1_saveexec_b32 s24, s24
; %bb.176:                              ;   in Loop: Header=BB2_130 Depth=3
	v_cmp_lt_i16_e32 vcc_lo, -1, v45
	v_cndmask_b32_e32 v17, 0xff800000, v21, vcc_lo
	v_cmp_eq_u32_e32 vcc_lo, 0, v46
	s_delay_alu instid0(VALU_DEP_2)
	v_cndmask_b32_e32 v30, 0x7f800001, v17, vcc_lo
; %bb.177:                              ;   in Loop: Header=BB2_130 Depth=3
	s_or_b32 exec_lo, exec_lo, s24
.LBB2_178:                              ;   in Loop: Header=BB2_130 Depth=3
	s_delay_alu instid0(SALU_CYCLE_1)
	s_or_b32 exec_lo, exec_lo, s23
.LBB2_179:                              ;   in Loop: Header=BB2_130 Depth=3
	s_delay_alu instid0(SALU_CYCLE_1) | instskip(NEXT) | instid1(SALU_CYCLE_1)
	s_or_b32 exec_lo, exec_lo, s22
	s_mov_b32 s22, exec_lo
	v_cmpx_ne_u16_e32 0, v2
	s_cbranch_execz .LBB2_189
; %bb.180:                              ;   in Loop: Header=BB2_130 Depth=3
	v_bfrev_b32_e32 v44, 1
	s_mov_b32 s23, exec_lo
	v_cmpx_ne_u16_e32 0xff80, v2
	s_cbranch_execz .LBB2_188
; %bb.181:                              ;   in Loop: Header=BB2_130 Depth=3
	v_and_b32_e32 v44, 0x7c, v4
	v_and_b32_e32 v17, 3, v4
	s_delay_alu instid0(VALU_DEP_2) | instskip(SKIP_1) | instid1(SALU_CYCLE_1)
	v_cmp_ne_u32_e32 vcc_lo, 0x7c, v44
                                        ; implicit-def: $vgpr44
	s_and_saveexec_b32 s24, vcc_lo
	s_xor_b32 s24, exec_lo, s24
	s_cbranch_execz .LBB2_185
; %bb.182:                              ;   in Loop: Header=BB2_130 Depth=3
	v_bfe_u32 v2, v4, 2, 5
	s_mov_b32 s25, exec_lo
	s_delay_alu instid0(VALU_DEP_1)
	v_cmpx_eq_u32_e32 0, v2
; %bb.183:                              ;   in Loop: Header=BB2_130 Depth=3
	v_clz_i32_u32_e32 v2, v17
	s_delay_alu instid0(VALU_DEP_1) | instskip(NEXT) | instid1(VALU_DEP_1)
	v_min_u32_e32 v2, 32, v2
	v_subrev_nc_u32_e32 v17, 29, v2
	s_delay_alu instid0(VALU_DEP_1) | instskip(NEXT) | instid1(VALU_DEP_1)
	v_lshlrev_b64_e32 v[44:45], v17, v[4:5]
	v_dual_sub_nc_u32 v2, 30, v2 :: v_dual_bitop2_b32 v17, 3, v44 bitop3:0x40
; %bb.184:                              ;   in Loop: Header=BB2_130 Depth=3
	s_or_b32 exec_lo, exec_lo, s25
	v_lshlrev_b32_e32 v5, 24, v4
	s_delay_alu instid0(VALU_DEP_1) | instskip(NEXT) | instid1(VALU_DEP_1)
	v_and_b32_e32 v5, 0x80000000, v5
	v_lshl_add_u32 v2, v2, 23, v5
	s_delay_alu instid0(VALU_DEP_1) | instskip(NEXT) | instid1(VALU_DEP_1)
	v_lshl_or_b32 v2, v17, 21, v2
                                        ; implicit-def: $vgpr17
	v_add_nc_u32_e32 v44, 0x38000000, v2
                                        ; implicit-def: $vgpr2
.LBB2_185:                              ;   in Loop: Header=BB2_130 Depth=3
	s_and_not1_saveexec_b32 s24, s24
; %bb.186:                              ;   in Loop: Header=BB2_130 Depth=3
	v_cmp_lt_i16_e32 vcc_lo, -1, v2
	v_cndmask_b32_e32 v2, 0xff800000, v21, vcc_lo
	v_cmp_eq_u32_e32 vcc_lo, 0, v17
	s_delay_alu instid0(VALU_DEP_2)
	v_cndmask_b32_e32 v44, 0x7f800001, v2, vcc_lo
; %bb.187:                              ;   in Loop: Header=BB2_130 Depth=3
	s_or_b32 exec_lo, exec_lo, s24
.LBB2_188:                              ;   in Loop: Header=BB2_130 Depth=3
	s_delay_alu instid0(SALU_CYCLE_1)
	s_or_b32 exec_lo, exec_lo, s23
.LBB2_189:                              ;   in Loop: Header=BB2_130 Depth=3
	s_delay_alu instid0(SALU_CYCLE_1) | instskip(NEXT) | instid1(VALU_DEP_1)
	s_or_b32 exec_lo, exec_lo, s22
	v_dual_max_num_f32 v2, v44, v44 :: v_dual_max_num_f32 v5, v30, v30
	s_delay_alu instid0(VALU_DEP_1)
	v_min_num_f32_e32 v30, v5, v2
.LBB2_190:                              ;   in Loop: Header=BB2_130 Depth=3
	s_or_b32 exec_lo, exec_lo, s9
	s_delay_alu instid0(VALU_DEP_1) | instskip(SKIP_4) | instid1(VALU_DEP_3)
	v_and_b32_e32 v46, 0x7f800000, v30
	v_dual_mov_b32 v47, v55 :: v_dual_mov_b32 v45, v55
	v_and_b32_e32 v44, 0x7fffff, v30
	v_lshrrev_b32_e32 v2, 24, v30
                                        ; implicit-def: $vgpr73
	s_mov_b32 s9, exec_lo
	v_cmpx_ne_u64_e32 0x7f800000, v[46:47]
	s_xor_b32 s22, exec_lo, s9
	s_cbranch_execz .LBB2_204
; %bb.191:                              ;   in Loop: Header=BB2_130 Depth=3
	v_and_b32_e32 v46, 0x7fffffff, v30
	v_mov_b32_e32 v47, v55
	v_and_b32_e32 v2, 0x80, v2
                                        ; implicit-def: $vgpr73
	s_mov_b32 s9, exec_lo
	s_delay_alu instid0(VALU_DEP_2)
	v_cmpx_gt_u64_e32 0x47600001, v[46:47]
	s_xor_b32 s23, exec_lo, s9
	s_cbranch_execz .LBB2_201
; %bb.192:                              ;   in Loop: Header=BB2_130 Depth=3
	v_mov_b32_e32 v73, 0
	s_mov_b32 s24, exec_lo
	v_cmpx_ne_u32_e32 0, v30
	s_cbranch_execz .LBB2_200
; %bb.193:                              ;   in Loop: Header=BB2_130 Depth=3
	v_bfe_u32 v5, v30, 23, 8
	v_or_b32_e32 v73, 0x800000, v44
	s_delay_alu instid0(VALU_DEP_2) | instskip(SKIP_1) | instid1(VALU_DEP_2)
	v_sub_nc_u32_e32 v17, 0x71, v5
	v_cmp_gt_u32_e32 vcc_lo, 0x72, v5
	v_cndmask_b32_e32 v17, 0, v17, vcc_lo
	v_cmp_eq_u32_e32 vcc_lo, 0, v5
	s_delay_alu instid0(VALU_DEP_2) | instskip(NEXT) | instid1(VALU_DEP_1)
	v_cndmask_b32_e64 v17, v17, 0x70, vcc_lo
	v_dual_cndmask_b32 v44, v73, v44, vcc_lo :: v_dual_add_nc_u32 v30, 21, v17
	s_delay_alu instid0(VALU_DEP_1) | instskip(SKIP_1) | instid1(VALU_DEP_1)
	v_lshlrev_b64_e64 v[46:47], v30, -1
	v_add_nc_u32_e32 v30, 20, v17
	v_lshlrev_b64_e64 v[78:79], v30, 1
	s_delay_alu instid0(VALU_DEP_3) | instskip(SKIP_2) | instid1(VALU_DEP_1)
	v_bfi_b32 v46, v46, 0, v44
	v_lshrrev_b64 v[44:45], v17, v[44:45]
	v_bfi_b32 v47, v47, 0, 0
	v_cmp_eq_u64_e64 s9, v[46:47], v[78:79]
	s_delay_alu instid0(VALU_DEP_3)
	v_mov_b64_e32 v[46:47], v[44:45]
	s_and_saveexec_b32 s25, s9
; %bb.194:                              ;   in Loop: Header=BB2_130 Depth=3
	v_bfe_u32 v46, v44, 21, 1
	v_mov_b32_e32 v47, v55
	s_delay_alu instid0(VALU_DEP_1) | instskip(NEXT) | instid1(VALU_DEP_1)
	v_add_nc_u64_e32 v[46:47], v[44:45], v[46:47]
	v_add_nc_u64_e32 v[46:47], -1, v[46:47]
; %bb.195:                              ;   in Loop: Header=BB2_130 Depth=3
	s_or_b32 exec_lo, exec_lo, s25
	v_add_nc_u32_e32 v5, 0xffffff81, v5
	v_lshrrev_b32_e32 v30, 23, v44
	s_mov_b32 s9, exec_lo
	v_mov_b32_e32 v45, v55
	s_delay_alu instid0(VALU_DEP_3) | instskip(NEXT) | instid1(VALU_DEP_1)
	v_cndmask_b32_e64 v5, v5, 0xffffff82, vcc_lo
	v_add3_u32 v17, v17, v5, v30
	v_and_b32_e32 v5, 0x1fffff, v46
	s_delay_alu instid0(VALU_DEP_1) | instskip(NEXT) | instid1(VALU_DEP_1)
	v_dual_add_nc_u32 v30, 14, v17 :: v_dual_add_nc_u32 v44, v5, v44
                                        ; implicit-def: $vgpr5
	v_cmpx_ne_u32_e32 0, v30
	s_xor_b32 s9, exec_lo, s9
; %bb.196:                              ;   in Loop: Header=BB2_130 Depth=3
	s_delay_alu instid0(VALU_DEP_2) | instskip(SKIP_2) | instid1(VALU_DEP_2)
	v_cmp_lt_u64_e32 vcc_lo, 0xffffff, v[44:45]
	v_add_nc_u32_e32 v5, 15, v17
	v_cndmask_b32_e64 v17, 0, 1, vcc_lo
	v_cndmask_b32_e32 v5, v30, v5, vcc_lo
	s_delay_alu instid0(VALU_DEP_2)
	v_lshrrev_b64 v[44:45], v17, v[44:45]
; %bb.197:                              ;   in Loop: Header=BB2_130 Depth=3
	s_and_not1_saveexec_b32 s9, s9
; %bb.198:                              ;   in Loop: Header=BB2_130 Depth=3
	s_delay_alu instid0(VALU_DEP_1)
	v_bfe_u32 v5, v44, 23, 1
; %bb.199:                              ;   in Loop: Header=BB2_130 Depth=3
	s_or_b32 exec_lo, exec_lo, s9
	s_delay_alu instid0(VALU_DEP_2) | instskip(NEXT) | instid1(VALU_DEP_2)
	v_lshrrev_b64 v[44:45], 21, v[44:45]
	v_cmp_gt_i32_e32 vcc_lo, 32, v5
	v_min_i32_e32 v17, 31, v5
	v_cmp_eq_u32_e64 s9, 0, v5
	s_delay_alu instid0(VALU_DEP_2) | instskip(SKIP_1) | instid1(VALU_DEP_2)
	v_dual_cndmask_b32 v44, 3, v44 :: v_dual_lshlrev_b32 v17, 2, v17
	v_cndmask_b32_e32 v45, 0, v45, vcc_lo
	v_and_b32_e32 v17, 0xfc, v17
	s_delay_alu instid0(VALU_DEP_2) | instskip(NEXT) | instid1(VALU_DEP_2)
	v_cmp_eq_u64_e32 vcc_lo, 0, v[44:45]
	v_and_or_b32 v5, v44, 3, v17
	s_and_b32 s9, s9, vcc_lo
	s_delay_alu instid0(VALU_DEP_1) | instid1(SALU_CYCLE_1)
	v_cndmask_b32_e64 v5, v5, 0, s9
	s_delay_alu instid0(VALU_DEP_1)
	v_or_b32_e32 v73, v5, v2
.LBB2_200:                              ;   in Loop: Header=BB2_130 Depth=3
	s_or_b32 exec_lo, exec_lo, s24
                                        ; implicit-def: $vgpr2
.LBB2_201:                              ;   in Loop: Header=BB2_130 Depth=3
	s_and_not1_saveexec_b32 s9, s23
; %bb.202:                              ;   in Loop: Header=BB2_130 Depth=3
	v_or_b32_e32 v73, 0x7b, v2
; %bb.203:                              ;   in Loop: Header=BB2_130 Depth=3
	s_or_b32 exec_lo, exec_lo, s9
                                        ; implicit-def: $vgpr30
                                        ; implicit-def: $vgpr44_vgpr45
                                        ; implicit-def: $vgpr2
.LBB2_204:                              ;   in Loop: Header=BB2_130 Depth=3
	s_and_not1_saveexec_b32 s9, s22
	s_cbranch_execz .LBB2_210
; %bb.205:                              ;   in Loop: Header=BB2_130 Depth=3
	s_mov_b32 s22, exec_lo
                                        ; implicit-def: $vgpr73
	v_cmpx_ne_u64_e32 0, v[44:45]
	s_xor_b32 s22, exec_lo, s22
; %bb.206:                              ;   in Loop: Header=BB2_130 Depth=3
	v_or_b32_e32 v73, 0x7f, v2
                                        ; implicit-def: $vgpr30
; %bb.207:                              ;   in Loop: Header=BB2_130 Depth=3
	s_and_not1_saveexec_b32 s22, s22
; %bb.208:                              ;   in Loop: Header=BB2_130 Depth=3
	v_cmp_lt_i32_e32 vcc_lo, -1, v30
	v_cndmask_b32_e32 v73, 0xfc, v58, vcc_lo
; %bb.209:                              ;   in Loop: Header=BB2_130 Depth=3
	s_or_b32 exec_lo, exec_lo, s22
.LBB2_210:                              ;   in Loop: Header=BB2_130 Depth=3
	s_delay_alu instid0(SALU_CYCLE_1) | instskip(SKIP_2) | instid1(VALU_DEP_2)
	s_or_b32 exec_lo, exec_lo, s9
	v_lshrrev_b16 v46, 8, v16
	v_lshrrev_b16 v44, 8, v4
                                        ; implicit-def: $vgpr5
	v_and_b32_e32 v17, 0xffff, v46
	v_cmp_ne_u16_e32 vcc_lo, 0, v46
	s_and_saveexec_b32 s9, s6
	s_delay_alu instid0(SALU_CYCLE_1)
	s_xor_b32 s22, exec_lo, s9
	s_cbranch_execz .LBB2_232
; %bb.211:                              ;   in Loop: Header=BB2_130 Depth=3
	v_dual_mov_b32 v5, 0 :: v_dual_mov_b32 v2, 0
	s_and_saveexec_b32 s23, vcc_lo
	s_cbranch_execz .LBB2_221
; %bb.212:                              ;   in Loop: Header=BB2_130 Depth=3
	v_bfrev_b32_e32 v2, 1
	s_mov_b32 s24, exec_lo
	v_cmpx_ne_u16_e32 0x80, v46
	s_cbranch_execz .LBB2_220
; %bb.213:                              ;   in Loop: Header=BB2_130 Depth=3
	v_and_b32_e32 v2, 0x7c, v17
	v_and_b32_e32 v30, 3, v17
	s_delay_alu instid0(VALU_DEP_2) | instskip(SKIP_1) | instid1(SALU_CYCLE_1)
	v_cmp_ne_u32_e64 s9, 0x7c, v2
                                        ; implicit-def: $vgpr2
	s_and_saveexec_b32 s25, s9
	s_xor_b32 s25, exec_lo, s25
	s_cbranch_execz .LBB2_217
; %bb.214:                              ;   in Loop: Header=BB2_130 Depth=3
	v_bfe_u32 v2, v17, 2, 5
	s_mov_b32 s26, exec_lo
	s_delay_alu instid0(VALU_DEP_1)
	v_cmpx_eq_u32_e32 0, v2
	s_cbranch_execz .LBB2_216
; %bb.215:                              ;   in Loop: Header=BB2_130 Depth=3
	v_clz_i32_u32_e32 v2, v30
	s_delay_alu instid0(VALU_DEP_1) | instskip(SKIP_1) | instid1(VALU_DEP_2)
	v_min_u32_e32 v2, 32, v2
	v_mov_b32_e32 v47, v55
	v_subrev_nc_u32_e32 v17, 29, v2
	v_sub_nc_u32_e32 v2, 30, v2
	s_delay_alu instid0(VALU_DEP_2) | instskip(NEXT) | instid1(VALU_DEP_1)
	v_lshlrev_b64_e32 v[46:47], v17, v[46:47]
	v_and_b32_e32 v30, 3, v46
.LBB2_216:                              ;   in Loop: Header=BB2_130 Depth=3
	s_or_b32 exec_lo, exec_lo, s26
	v_lshlrev_b32_e32 v17, 16, v16
	s_delay_alu instid0(VALU_DEP_1) | instskip(NEXT) | instid1(VALU_DEP_1)
	v_and_b32_e32 v17, 0x80000000, v17
	v_lshl_add_u32 v2, v2, 23, v17
	s_delay_alu instid0(VALU_DEP_1) | instskip(NEXT) | instid1(VALU_DEP_1)
	v_lshl_or_b32 v2, v30, 21, v2
                                        ; implicit-def: $vgpr30
	v_add_nc_u32_e32 v2, 0x38000000, v2
.LBB2_217:                              ;   in Loop: Header=BB2_130 Depth=3
	s_and_not1_saveexec_b32 s25, s25
; %bb.218:                              ;   in Loop: Header=BB2_130 Depth=3
	v_cmp_lt_i16_e64 s9, -1, v16
	s_delay_alu instid0(VALU_DEP_1) | instskip(SKIP_1) | instid1(VALU_DEP_1)
	v_cndmask_b32_e64 v2, 0xff800000, v21, s9
	v_cmp_eq_u32_e64 s9, 0, v30
	v_cndmask_b32_e64 v2, 0x7f800001, v2, s9
; %bb.219:                              ;   in Loop: Header=BB2_130 Depth=3
	s_or_b32 exec_lo, exec_lo, s25
.LBB2_220:                              ;   in Loop: Header=BB2_130 Depth=3
	s_delay_alu instid0(SALU_CYCLE_1)
	s_or_b32 exec_lo, exec_lo, s24
.LBB2_221:                              ;   in Loop: Header=BB2_130 Depth=3
	s_delay_alu instid0(SALU_CYCLE_1) | instskip(NEXT) | instid1(SALU_CYCLE_1)
	s_or_b32 exec_lo, exec_lo, s23
	s_mov_b32 s23, exec_lo
	v_cmpx_ne_u16_e32 0, v44
	s_cbranch_execz .LBB2_231
; %bb.222:                              ;   in Loop: Header=BB2_130 Depth=3
	v_bfrev_b32_e32 v5, 1
	s_mov_b32 s24, exec_lo
	v_cmpx_ne_u16_e32 0x80, v44
	s_cbranch_execz .LBB2_230
; %bb.223:                              ;   in Loop: Header=BB2_130 Depth=3
	v_and_b32_e32 v30, 0xffff, v44
	s_delay_alu instid0(VALU_DEP_1) | instskip(SKIP_1) | instid1(VALU_DEP_2)
	v_and_b32_e32 v5, 0x7c, v30
	v_and_b32_e32 v17, 3, v30
	v_cmp_ne_u32_e64 s9, 0x7c, v5
                                        ; implicit-def: $vgpr5
	s_and_saveexec_b32 s25, s9
	s_delay_alu instid0(SALU_CYCLE_1)
	s_xor_b32 s25, exec_lo, s25
	s_cbranch_execz .LBB2_227
; %bb.224:                              ;   in Loop: Header=BB2_130 Depth=3
	v_bfe_u32 v5, v30, 2, 5
	s_mov_b32 s26, exec_lo
	s_delay_alu instid0(VALU_DEP_1)
	v_cmpx_eq_u32_e32 0, v5
	s_cbranch_execz .LBB2_226
; %bb.225:                              ;   in Loop: Header=BB2_130 Depth=3
	v_clz_i32_u32_e32 v5, v17
	s_delay_alu instid0(VALU_DEP_1) | instskip(SKIP_1) | instid1(VALU_DEP_2)
	v_min_u32_e32 v5, 32, v5
	v_mov_b32_e32 v45, v55
	v_subrev_nc_u32_e32 v17, 29, v5
	v_sub_nc_u32_e32 v5, 30, v5
	s_delay_alu instid0(VALU_DEP_2) | instskip(NEXT) | instid1(VALU_DEP_1)
	v_lshlrev_b64_e32 v[44:45], v17, v[44:45]
	v_and_b32_e32 v17, 3, v44
.LBB2_226:                              ;   in Loop: Header=BB2_130 Depth=3
	s_or_b32 exec_lo, exec_lo, s26
	v_lshlrev_b32_e32 v30, 16, v4
	s_delay_alu instid0(VALU_DEP_1) | instskip(NEXT) | instid1(VALU_DEP_1)
	v_and_b32_e32 v30, 0x80000000, v30
	v_lshl_add_u32 v5, v5, 23, v30
	s_delay_alu instid0(VALU_DEP_1) | instskip(NEXT) | instid1(VALU_DEP_1)
	v_lshl_or_b32 v5, v17, 21, v5
                                        ; implicit-def: $vgpr17
	v_add_nc_u32_e32 v5, 0x38000000, v5
.LBB2_227:                              ;   in Loop: Header=BB2_130 Depth=3
	s_and_not1_saveexec_b32 s25, s25
; %bb.228:                              ;   in Loop: Header=BB2_130 Depth=3
	v_cmp_lt_i16_e64 s9, -1, v4
	s_delay_alu instid0(VALU_DEP_1) | instskip(SKIP_1) | instid1(VALU_DEP_1)
	v_cndmask_b32_e64 v5, 0xff800000, v21, s9
	v_cmp_eq_u32_e64 s9, 0, v17
	v_cndmask_b32_e64 v5, 0x7f800001, v5, s9
; %bb.229:                              ;   in Loop: Header=BB2_130 Depth=3
	s_or_b32 exec_lo, exec_lo, s25
.LBB2_230:                              ;   in Loop: Header=BB2_130 Depth=3
	s_delay_alu instid0(SALU_CYCLE_1)
	s_or_b32 exec_lo, exec_lo, s24
.LBB2_231:                              ;   in Loop: Header=BB2_130 Depth=3
	s_delay_alu instid0(SALU_CYCLE_1) | instskip(NEXT) | instid1(VALU_DEP_1)
	s_or_b32 exec_lo, exec_lo, s23
	v_dual_max_num_f32 v5, v5, v5 :: v_dual_max_num_f32 v2, v2, v2
                                        ; implicit-def: $vgpr44
                                        ; implicit-def: $vgpr46
                                        ; implicit-def: $vgpr17
	s_delay_alu instid0(VALU_DEP_1)
	v_max_num_f32_e32 v5, v2, v5
.LBB2_232:                              ;   in Loop: Header=BB2_130 Depth=3
	s_and_not1_saveexec_b32 s9, s22
	s_cbranch_execz .LBB2_254
; %bb.233:                              ;   in Loop: Header=BB2_130 Depth=3
	v_dual_mov_b32 v5, 0 :: v_dual_mov_b32 v2, 0
	s_and_saveexec_b32 s22, vcc_lo
	s_cbranch_execz .LBB2_243
; %bb.234:                              ;   in Loop: Header=BB2_130 Depth=3
	v_bfrev_b32_e32 v2, 1
	s_mov_b32 s23, exec_lo
	v_cmpx_ne_u16_e32 0x80, v46
	s_cbranch_execz .LBB2_242
; %bb.235:                              ;   in Loop: Header=BB2_130 Depth=3
	v_and_b32_e32 v2, 0x7c, v17
	v_and_b32_e32 v30, 3, v17
	s_delay_alu instid0(VALU_DEP_2) | instskip(SKIP_1) | instid1(SALU_CYCLE_1)
	v_cmp_ne_u32_e32 vcc_lo, 0x7c, v2
                                        ; implicit-def: $vgpr2
	s_and_saveexec_b32 s24, vcc_lo
	s_xor_b32 s24, exec_lo, s24
	s_cbranch_execz .LBB2_239
; %bb.236:                              ;   in Loop: Header=BB2_130 Depth=3
	v_bfe_u32 v2, v17, 2, 5
	s_mov_b32 s25, exec_lo
	s_delay_alu instid0(VALU_DEP_1)
	v_cmpx_eq_u32_e32 0, v2
	s_cbranch_execz .LBB2_238
; %bb.237:                              ;   in Loop: Header=BB2_130 Depth=3
	v_clz_i32_u32_e32 v2, v30
	s_delay_alu instid0(VALU_DEP_1) | instskip(SKIP_1) | instid1(VALU_DEP_2)
	v_min_u32_e32 v2, 32, v2
	v_mov_b32_e32 v47, v55
	v_subrev_nc_u32_e32 v17, 29, v2
	v_sub_nc_u32_e32 v2, 30, v2
	s_delay_alu instid0(VALU_DEP_2) | instskip(NEXT) | instid1(VALU_DEP_1)
	v_lshlrev_b64_e32 v[46:47], v17, v[46:47]
	v_and_b32_e32 v30, 3, v46
.LBB2_238:                              ;   in Loop: Header=BB2_130 Depth=3
	s_or_b32 exec_lo, exec_lo, s25
	v_lshlrev_b32_e32 v17, 16, v16
	s_delay_alu instid0(VALU_DEP_1) | instskip(NEXT) | instid1(VALU_DEP_1)
	v_and_b32_e32 v17, 0x80000000, v17
	v_lshl_add_u32 v2, v2, 23, v17
	s_delay_alu instid0(VALU_DEP_1) | instskip(NEXT) | instid1(VALU_DEP_1)
	v_lshl_or_b32 v2, v30, 21, v2
                                        ; implicit-def: $vgpr30
	v_add_nc_u32_e32 v2, 0x38000000, v2
.LBB2_239:                              ;   in Loop: Header=BB2_130 Depth=3
	s_and_not1_saveexec_b32 s24, s24
; %bb.240:                              ;   in Loop: Header=BB2_130 Depth=3
	v_cmp_lt_i16_e32 vcc_lo, -1, v16
	v_cndmask_b32_e32 v2, 0xff800000, v21, vcc_lo
	v_cmp_eq_u32_e32 vcc_lo, 0, v30
	s_delay_alu instid0(VALU_DEP_2)
	v_cndmask_b32_e32 v2, 0x7f800001, v2, vcc_lo
; %bb.241:                              ;   in Loop: Header=BB2_130 Depth=3
	s_or_b32 exec_lo, exec_lo, s24
.LBB2_242:                              ;   in Loop: Header=BB2_130 Depth=3
	s_delay_alu instid0(SALU_CYCLE_1)
	s_or_b32 exec_lo, exec_lo, s23
.LBB2_243:                              ;   in Loop: Header=BB2_130 Depth=3
	s_delay_alu instid0(SALU_CYCLE_1) | instskip(NEXT) | instid1(SALU_CYCLE_1)
	s_or_b32 exec_lo, exec_lo, s22
	s_mov_b32 s22, exec_lo
	v_cmpx_ne_u16_e32 0, v44
	s_cbranch_execz .LBB2_253
; %bb.244:                              ;   in Loop: Header=BB2_130 Depth=3
	v_bfrev_b32_e32 v5, 1
	s_mov_b32 s23, exec_lo
	v_cmpx_ne_u16_e32 0x80, v44
	s_cbranch_execz .LBB2_252
; %bb.245:                              ;   in Loop: Header=BB2_130 Depth=3
	v_and_b32_e32 v30, 0xffff, v44
	s_delay_alu instid0(VALU_DEP_1) | instskip(SKIP_1) | instid1(VALU_DEP_2)
	v_and_b32_e32 v5, 0x7c, v30
	v_and_b32_e32 v17, 3, v30
	v_cmp_ne_u32_e32 vcc_lo, 0x7c, v5
                                        ; implicit-def: $vgpr5
	s_and_saveexec_b32 s24, vcc_lo
	s_delay_alu instid0(SALU_CYCLE_1)
	s_xor_b32 s24, exec_lo, s24
	s_cbranch_execz .LBB2_249
; %bb.246:                              ;   in Loop: Header=BB2_130 Depth=3
	v_bfe_u32 v5, v30, 2, 5
	s_mov_b32 s25, exec_lo
	s_delay_alu instid0(VALU_DEP_1)
	v_cmpx_eq_u32_e32 0, v5
	s_cbranch_execz .LBB2_248
; %bb.247:                              ;   in Loop: Header=BB2_130 Depth=3
	v_clz_i32_u32_e32 v5, v17
	s_delay_alu instid0(VALU_DEP_1) | instskip(SKIP_1) | instid1(VALU_DEP_2)
	v_min_u32_e32 v5, 32, v5
	v_mov_b32_e32 v45, v55
	v_subrev_nc_u32_e32 v17, 29, v5
	v_sub_nc_u32_e32 v5, 30, v5
	s_delay_alu instid0(VALU_DEP_2) | instskip(NEXT) | instid1(VALU_DEP_1)
	v_lshlrev_b64_e32 v[44:45], v17, v[44:45]
	v_and_b32_e32 v17, 3, v44
.LBB2_248:                              ;   in Loop: Header=BB2_130 Depth=3
	s_or_b32 exec_lo, exec_lo, s25
	v_lshlrev_b32_e32 v30, 16, v4
	s_delay_alu instid0(VALU_DEP_1) | instskip(NEXT) | instid1(VALU_DEP_1)
	v_and_b32_e32 v30, 0x80000000, v30
	v_lshl_add_u32 v5, v5, 23, v30
	s_delay_alu instid0(VALU_DEP_1) | instskip(NEXT) | instid1(VALU_DEP_1)
	v_lshl_or_b32 v5, v17, 21, v5
                                        ; implicit-def: $vgpr17
	v_add_nc_u32_e32 v5, 0x38000000, v5
.LBB2_249:                              ;   in Loop: Header=BB2_130 Depth=3
	s_and_not1_saveexec_b32 s24, s24
; %bb.250:                              ;   in Loop: Header=BB2_130 Depth=3
	v_cmp_lt_i16_e32 vcc_lo, -1, v4
	v_cndmask_b32_e32 v5, 0xff800000, v21, vcc_lo
	v_cmp_eq_u32_e32 vcc_lo, 0, v17
	s_delay_alu instid0(VALU_DEP_2)
	v_cndmask_b32_e32 v5, 0x7f800001, v5, vcc_lo
; %bb.251:                              ;   in Loop: Header=BB2_130 Depth=3
	s_or_b32 exec_lo, exec_lo, s24
.LBB2_252:                              ;   in Loop: Header=BB2_130 Depth=3
	s_delay_alu instid0(SALU_CYCLE_1)
	s_or_b32 exec_lo, exec_lo, s23
.LBB2_253:                              ;   in Loop: Header=BB2_130 Depth=3
	s_delay_alu instid0(SALU_CYCLE_1) | instskip(NEXT) | instid1(VALU_DEP_1)
	s_or_b32 exec_lo, exec_lo, s22
	v_dual_max_num_f32 v5, v5, v5 :: v_dual_max_num_f32 v2, v2, v2
	s_delay_alu instid0(VALU_DEP_1)
	v_min_num_f32_e32 v5, v2, v5
.LBB2_254:                              ;   in Loop: Header=BB2_130 Depth=3
	s_or_b32 exec_lo, exec_lo, s9
	s_delay_alu instid0(VALU_DEP_1) | instskip(SKIP_4) | instid1(VALU_DEP_3)
	v_and_b32_e32 v46, 0x7f800000, v5
	v_dual_mov_b32 v47, v55 :: v_dual_mov_b32 v45, v55
	v_and_b32_e32 v44, 0x7fffff, v5
	v_lshrrev_b32_e32 v2, 24, v5
                                        ; implicit-def: $vgpr74
	s_mov_b32 s9, exec_lo
	v_cmpx_ne_u64_e32 0x7f800000, v[46:47]
	s_xor_b32 s22, exec_lo, s9
	s_cbranch_execz .LBB2_268
; %bb.255:                              ;   in Loop: Header=BB2_130 Depth=3
	v_and_b32_e32 v46, 0x7fffffff, v5
	v_mov_b32_e32 v47, v55
	v_and_b32_e32 v2, 0x80, v2
                                        ; implicit-def: $vgpr74
	s_mov_b32 s9, exec_lo
	s_delay_alu instid0(VALU_DEP_2)
	v_cmpx_gt_u64_e32 0x47600001, v[46:47]
	s_xor_b32 s23, exec_lo, s9
	s_cbranch_execz .LBB2_265
; %bb.256:                              ;   in Loop: Header=BB2_130 Depth=3
	v_mov_b32_e32 v74, 0
	s_mov_b32 s24, exec_lo
	v_cmpx_ne_u32_e32 0, v5
	s_cbranch_execz .LBB2_264
; %bb.257:                              ;   in Loop: Header=BB2_130 Depth=3
	v_bfe_u32 v5, v5, 23, 8
	v_or_b32_e32 v74, 0x800000, v44
	s_delay_alu instid0(VALU_DEP_2) | instskip(SKIP_1) | instid1(VALU_DEP_2)
	v_sub_nc_u32_e32 v17, 0x71, v5
	v_cmp_gt_u32_e32 vcc_lo, 0x72, v5
	v_cndmask_b32_e32 v17, 0, v17, vcc_lo
	v_cmp_eq_u32_e32 vcc_lo, 0, v5
	s_delay_alu instid0(VALU_DEP_2) | instskip(NEXT) | instid1(VALU_DEP_1)
	v_cndmask_b32_e64 v17, v17, 0x70, vcc_lo
	v_dual_cndmask_b32 v44, v74, v44, vcc_lo :: v_dual_add_nc_u32 v30, 21, v17
	s_delay_alu instid0(VALU_DEP_1) | instskip(SKIP_1) | instid1(VALU_DEP_1)
	v_lshlrev_b64_e64 v[46:47], v30, -1
	v_add_nc_u32_e32 v30, 20, v17
	v_lshlrev_b64_e64 v[78:79], v30, 1
	s_delay_alu instid0(VALU_DEP_3) | instskip(SKIP_2) | instid1(VALU_DEP_1)
	v_bfi_b32 v46, v46, 0, v44
	v_lshrrev_b64 v[44:45], v17, v[44:45]
	v_bfi_b32 v47, v47, 0, 0
	v_cmp_eq_u64_e64 s9, v[46:47], v[78:79]
	s_delay_alu instid0(VALU_DEP_3)
	v_mov_b64_e32 v[46:47], v[44:45]
	s_and_saveexec_b32 s25, s9
; %bb.258:                              ;   in Loop: Header=BB2_130 Depth=3
	v_bfe_u32 v46, v44, 21, 1
	v_mov_b32_e32 v47, v55
	s_delay_alu instid0(VALU_DEP_1) | instskip(NEXT) | instid1(VALU_DEP_1)
	v_add_nc_u64_e32 v[46:47], v[44:45], v[46:47]
	v_add_nc_u64_e32 v[46:47], -1, v[46:47]
; %bb.259:                              ;   in Loop: Header=BB2_130 Depth=3
	s_or_b32 exec_lo, exec_lo, s25
	v_add_nc_u32_e32 v5, 0xffffff81, v5
	v_lshrrev_b32_e32 v30, 23, v44
	s_mov_b32 s9, exec_lo
	v_mov_b32_e32 v45, v55
	s_delay_alu instid0(VALU_DEP_3) | instskip(NEXT) | instid1(VALU_DEP_1)
	v_cndmask_b32_e64 v5, v5, 0xffffff82, vcc_lo
	v_add3_u32 v17, v17, v5, v30
	v_and_b32_e32 v5, 0x1fffff, v46
	s_delay_alu instid0(VALU_DEP_1) | instskip(NEXT) | instid1(VALU_DEP_1)
	v_dual_add_nc_u32 v30, 14, v17 :: v_dual_add_nc_u32 v44, v5, v44
                                        ; implicit-def: $vgpr5
	v_cmpx_ne_u32_e32 0, v30
	s_xor_b32 s9, exec_lo, s9
; %bb.260:                              ;   in Loop: Header=BB2_130 Depth=3
	s_delay_alu instid0(VALU_DEP_2) | instskip(SKIP_2) | instid1(VALU_DEP_2)
	v_cmp_lt_u64_e32 vcc_lo, 0xffffff, v[44:45]
	v_add_nc_u32_e32 v5, 15, v17
	v_cndmask_b32_e64 v17, 0, 1, vcc_lo
	v_cndmask_b32_e32 v5, v30, v5, vcc_lo
	s_delay_alu instid0(VALU_DEP_2)
	v_lshrrev_b64 v[44:45], v17, v[44:45]
; %bb.261:                              ;   in Loop: Header=BB2_130 Depth=3
	s_and_not1_saveexec_b32 s9, s9
; %bb.262:                              ;   in Loop: Header=BB2_130 Depth=3
	s_delay_alu instid0(VALU_DEP_1)
	v_bfe_u32 v5, v44, 23, 1
; %bb.263:                              ;   in Loop: Header=BB2_130 Depth=3
	s_or_b32 exec_lo, exec_lo, s9
	s_delay_alu instid0(VALU_DEP_2) | instskip(NEXT) | instid1(VALU_DEP_2)
	v_lshrrev_b64 v[44:45], 21, v[44:45]
	v_cmp_gt_i32_e32 vcc_lo, 32, v5
	v_min_i32_e32 v17, 31, v5
	v_cmp_eq_u32_e64 s9, 0, v5
	s_delay_alu instid0(VALU_DEP_2) | instskip(SKIP_1) | instid1(VALU_DEP_2)
	v_dual_cndmask_b32 v44, 3, v44 :: v_dual_lshlrev_b32 v17, 2, v17
	v_cndmask_b32_e32 v45, 0, v45, vcc_lo
	v_and_b32_e32 v17, 0xfc, v17
	s_delay_alu instid0(VALU_DEP_2) | instskip(NEXT) | instid1(VALU_DEP_2)
	v_cmp_eq_u64_e32 vcc_lo, 0, v[44:45]
	v_and_or_b32 v5, v44, 3, v17
	s_and_b32 s9, s9, vcc_lo
	s_delay_alu instid0(VALU_DEP_1) | instid1(SALU_CYCLE_1)
	v_cndmask_b32_e64 v5, v5, 0, s9
	s_delay_alu instid0(VALU_DEP_1)
	v_or_b32_e32 v74, v5, v2
.LBB2_264:                              ;   in Loop: Header=BB2_130 Depth=3
	s_or_b32 exec_lo, exec_lo, s24
                                        ; implicit-def: $vgpr2
.LBB2_265:                              ;   in Loop: Header=BB2_130 Depth=3
	s_and_not1_saveexec_b32 s9, s23
; %bb.266:                              ;   in Loop: Header=BB2_130 Depth=3
	v_or_b32_e32 v74, 0x7b, v2
; %bb.267:                              ;   in Loop: Header=BB2_130 Depth=3
	s_or_b32 exec_lo, exec_lo, s9
                                        ; implicit-def: $vgpr5
                                        ; implicit-def: $vgpr44_vgpr45
                                        ; implicit-def: $vgpr2
.LBB2_268:                              ;   in Loop: Header=BB2_130 Depth=3
	s_and_not1_saveexec_b32 s9, s22
	s_cbranch_execz .LBB2_274
; %bb.269:                              ;   in Loop: Header=BB2_130 Depth=3
	s_mov_b32 s22, exec_lo
                                        ; implicit-def: $vgpr74
	v_cmpx_ne_u64_e32 0, v[44:45]
	s_xor_b32 s22, exec_lo, s22
; %bb.270:                              ;   in Loop: Header=BB2_130 Depth=3
	v_or_b32_e32 v74, 0x7f, v2
                                        ; implicit-def: $vgpr5
; %bb.271:                              ;   in Loop: Header=BB2_130 Depth=3
	s_and_not1_saveexec_b32 s22, s22
; %bb.272:                              ;   in Loop: Header=BB2_130 Depth=3
	v_cmp_lt_i32_e32 vcc_lo, -1, v5
	v_cndmask_b32_e32 v74, 0xfc, v58, vcc_lo
; %bb.273:                              ;   in Loop: Header=BB2_130 Depth=3
	s_or_b32 exec_lo, exec_lo, s22
.LBB2_274:                              ;   in Loop: Header=BB2_130 Depth=3
	s_delay_alu instid0(SALU_CYCLE_1) | instskip(SKIP_2) | instid1(VALU_DEP_2)
	s_or_b32 exec_lo, exec_lo, s9
	v_lshrrev_b32_e32 v30, 16, v16
	v_lshrrev_b32_e32 v2, 16, v4
                                        ; implicit-def: $vgpr5
	v_and_b32_e32 v44, 0xff, v30
	s_delay_alu instid0(VALU_DEP_1) | instskip(SKIP_1) | instid1(SALU_CYCLE_1)
	v_cmp_ne_u16_e32 vcc_lo, 0, v44
	s_and_saveexec_b32 s9, s6
	s_xor_b32 s22, exec_lo, s9
	s_cbranch_execz .LBB2_296
; %bb.275:                              ;   in Loop: Header=BB2_130 Depth=3
	v_dual_mov_b32 v17, 0 :: v_dual_mov_b32 v5, 0
	s_and_saveexec_b32 s23, vcc_lo
	s_cbranch_execz .LBB2_285
; %bb.276:                              ;   in Loop: Header=BB2_130 Depth=3
	v_bfrev_b32_e32 v5, 1
	s_mov_b32 s24, exec_lo
	v_cmpx_ne_u16_e32 0x80, v44
	s_cbranch_execz .LBB2_284
; %bb.277:                              ;   in Loop: Header=BB2_130 Depth=3
	v_and_b32_e32 v5, 0x7c0000, v16
	v_bfe_u32 v44, v16, 16, 2
	s_delay_alu instid0(VALU_DEP_2) | instskip(SKIP_1) | instid1(SALU_CYCLE_1)
	v_cmp_ne_u32_e64 s9, 0x7c0000, v5
                                        ; implicit-def: $vgpr5
	s_and_saveexec_b32 s25, s9
	s_xor_b32 s25, exec_lo, s25
	s_cbranch_execz .LBB2_281
; %bb.278:                              ;   in Loop: Header=BB2_130 Depth=3
	v_bfe_u32 v5, v16, 18, 5
	s_mov_b32 s26, exec_lo
	s_delay_alu instid0(VALU_DEP_1)
	v_cmpx_eq_u32_e32 0, v5
; %bb.279:                              ;   in Loop: Header=BB2_130 Depth=3
	v_clz_i32_u32_e32 v5, v44
	s_delay_alu instid0(VALU_DEP_1) | instskip(NEXT) | instid1(VALU_DEP_1)
	v_min_u32_e32 v5, 32, v5
	v_subrev_nc_u32_e32 v44, 29, v5
	s_delay_alu instid0(VALU_DEP_1) | instskip(NEXT) | instid1(VALU_DEP_1)
	v_lshlrev_b64_e32 v[44:45], v44, v[30:31]
	v_dual_sub_nc_u32 v5, 30, v5 :: v_dual_bitop2_b32 v44, 3, v44 bitop3:0x40
; %bb.280:                              ;   in Loop: Header=BB2_130 Depth=3
	s_or_b32 exec_lo, exec_lo, s26
	v_lshlrev_b32_e32 v30, 24, v30
	s_delay_alu instid0(VALU_DEP_1) | instskip(NEXT) | instid1(VALU_DEP_1)
	v_and_b32_e32 v30, 0x80000000, v30
	v_lshl_add_u32 v5, v5, 23, v30
                                        ; implicit-def: $vgpr30
	s_delay_alu instid0(VALU_DEP_1) | instskip(NEXT) | instid1(VALU_DEP_1)
	v_lshl_or_b32 v5, v44, 21, v5
                                        ; implicit-def: $vgpr44
	v_add_nc_u32_e32 v5, 0x38000000, v5
.LBB2_281:                              ;   in Loop: Header=BB2_130 Depth=3
	s_and_not1_saveexec_b32 s25, s25
; %bb.282:                              ;   in Loop: Header=BB2_130 Depth=3
	v_bfe_i32 v5, v30, 0, 8
	s_delay_alu instid0(VALU_DEP_1) | instskip(NEXT) | instid1(VALU_DEP_1)
	v_cmp_lt_i16_e64 s9, -1, v5
	v_cndmask_b32_e64 v5, 0xff800000, v21, s9
	v_cmp_eq_u32_e64 s9, 0, v44
	s_delay_alu instid0(VALU_DEP_1)
	v_cndmask_b32_e64 v5, 0x7f800001, v5, s9
; %bb.283:                              ;   in Loop: Header=BB2_130 Depth=3
	s_or_b32 exec_lo, exec_lo, s25
.LBB2_284:                              ;   in Loop: Header=BB2_130 Depth=3
	s_delay_alu instid0(SALU_CYCLE_1)
	s_or_b32 exec_lo, exec_lo, s24
.LBB2_285:                              ;   in Loop: Header=BB2_130 Depth=3
	s_delay_alu instid0(SALU_CYCLE_1) | instskip(SKIP_2) | instid1(VALU_DEP_1)
	s_or_b32 exec_lo, exec_lo, s23
	v_lshrrev_b32_e32 v44, 16, v4
	s_mov_b32 s23, exec_lo
	v_and_b32_e32 v30, 0xff, v44
	s_delay_alu instid0(VALU_DEP_1)
	v_cmpx_ne_u16_e32 0, v30
	s_cbranch_execz .LBB2_295
; %bb.286:                              ;   in Loop: Header=BB2_130 Depth=3
	v_bfrev_b32_e32 v17, 1
	s_mov_b32 s24, exec_lo
	v_cmpx_ne_u16_e32 0x80, v30
	s_cbranch_execz .LBB2_294
; %bb.287:                              ;   in Loop: Header=BB2_130 Depth=3
	v_and_b32_e32 v17, 0x7c0000, v4
	v_bfe_u32 v30, v4, 16, 2
	s_delay_alu instid0(VALU_DEP_2) | instskip(SKIP_1) | instid1(SALU_CYCLE_1)
	v_cmp_ne_u32_e64 s9, 0x7c0000, v17
                                        ; implicit-def: $vgpr17
	s_and_saveexec_b32 s25, s9
	s_xor_b32 s25, exec_lo, s25
	s_cbranch_execz .LBB2_291
; %bb.288:                              ;   in Loop: Header=BB2_130 Depth=3
	v_bfe_u32 v17, v4, 18, 5
	s_mov_b32 s26, exec_lo
	s_delay_alu instid0(VALU_DEP_1)
	v_cmpx_eq_u32_e32 0, v17
; %bb.289:                              ;   in Loop: Header=BB2_130 Depth=3
	v_clz_i32_u32_e32 v17, v30
	s_delay_alu instid0(VALU_DEP_1) | instskip(NEXT) | instid1(VALU_DEP_1)
	v_min_u32_e32 v17, 32, v17
	v_subrev_nc_u32_e32 v30, 29, v17
	s_delay_alu instid0(VALU_DEP_1) | instskip(NEXT) | instid1(VALU_DEP_1)
	v_lshlrev_b64_e32 v[44:45], v30, v[2:3]
	v_dual_sub_nc_u32 v17, 30, v17 :: v_dual_bitop2_b32 v30, 3, v44 bitop3:0x40
; %bb.290:                              ;   in Loop: Header=BB2_130 Depth=3
	s_or_b32 exec_lo, exec_lo, s26
	v_lshlrev_b32_e32 v2, 24, v2
                                        ; implicit-def: $vgpr44
	s_delay_alu instid0(VALU_DEP_1) | instskip(NEXT) | instid1(VALU_DEP_1)
	v_and_b32_e32 v2, 0x80000000, v2
	v_lshl_add_u32 v2, v17, 23, v2
	s_delay_alu instid0(VALU_DEP_1) | instskip(NEXT) | instid1(VALU_DEP_1)
	v_lshl_or_b32 v2, v30, 21, v2
                                        ; implicit-def: $vgpr30
	v_add_nc_u32_e32 v17, 0x38000000, v2
.LBB2_291:                              ;   in Loop: Header=BB2_130 Depth=3
	s_and_not1_saveexec_b32 s25, s25
; %bb.292:                              ;   in Loop: Header=BB2_130 Depth=3
	v_bfe_i32 v2, v44, 0, 8
	s_delay_alu instid0(VALU_DEP_1) | instskip(NEXT) | instid1(VALU_DEP_1)
	v_cmp_lt_i16_e64 s9, -1, v2
	v_cndmask_b32_e64 v2, 0xff800000, v21, s9
	v_cmp_eq_u32_e64 s9, 0, v30
	s_delay_alu instid0(VALU_DEP_1)
	v_cndmask_b32_e64 v17, 0x7f800001, v2, s9
; %bb.293:                              ;   in Loop: Header=BB2_130 Depth=3
	s_or_b32 exec_lo, exec_lo, s25
.LBB2_294:                              ;   in Loop: Header=BB2_130 Depth=3
	s_delay_alu instid0(SALU_CYCLE_1)
	s_or_b32 exec_lo, exec_lo, s24
.LBB2_295:                              ;   in Loop: Header=BB2_130 Depth=3
	s_delay_alu instid0(SALU_CYCLE_1) | instskip(NEXT) | instid1(VALU_DEP_1)
	s_or_b32 exec_lo, exec_lo, s23
	v_max_num_f32_e32 v2, v17, v17
	v_max_num_f32_e32 v5, v5, v5
                                        ; implicit-def: $vgpr44
                                        ; implicit-def: $vgpr30
	s_delay_alu instid0(VALU_DEP_1)
	v_max_num_f32_e32 v5, v5, v2
                                        ; implicit-def: $vgpr2
.LBB2_296:                              ;   in Loop: Header=BB2_130 Depth=3
	s_and_not1_saveexec_b32 s9, s22
	s_cbranch_execz .LBB2_318
; %bb.297:                              ;   in Loop: Header=BB2_130 Depth=3
	v_dual_mov_b32 v17, 0 :: v_dual_mov_b32 v5, 0
	s_and_saveexec_b32 s22, vcc_lo
	s_cbranch_execz .LBB2_307
; %bb.298:                              ;   in Loop: Header=BB2_130 Depth=3
	v_bfrev_b32_e32 v5, 1
	s_mov_b32 s23, exec_lo
	v_cmpx_ne_u16_e32 0x80, v44
	s_cbranch_execz .LBB2_306
; %bb.299:                              ;   in Loop: Header=BB2_130 Depth=3
	v_and_b32_e32 v5, 0x7c0000, v16
	v_bfe_u32 v44, v16, 16, 2
	s_delay_alu instid0(VALU_DEP_2) | instskip(SKIP_1) | instid1(SALU_CYCLE_1)
	v_cmp_ne_u32_e32 vcc_lo, 0x7c0000, v5
                                        ; implicit-def: $vgpr5
	s_and_saveexec_b32 s24, vcc_lo
	s_xor_b32 s24, exec_lo, s24
	s_cbranch_execz .LBB2_303
; %bb.300:                              ;   in Loop: Header=BB2_130 Depth=3
	v_bfe_u32 v5, v16, 18, 5
	s_mov_b32 s25, exec_lo
	s_delay_alu instid0(VALU_DEP_1)
	v_cmpx_eq_u32_e32 0, v5
; %bb.301:                              ;   in Loop: Header=BB2_130 Depth=3
	v_clz_i32_u32_e32 v5, v44
	s_delay_alu instid0(VALU_DEP_1) | instskip(NEXT) | instid1(VALU_DEP_1)
	v_min_u32_e32 v5, 32, v5
	v_subrev_nc_u32_e32 v44, 29, v5
	s_delay_alu instid0(VALU_DEP_1) | instskip(NEXT) | instid1(VALU_DEP_1)
	v_lshlrev_b64_e32 v[44:45], v44, v[30:31]
	v_dual_sub_nc_u32 v5, 30, v5 :: v_dual_bitop2_b32 v44, 3, v44 bitop3:0x40
; %bb.302:                              ;   in Loop: Header=BB2_130 Depth=3
	s_or_b32 exec_lo, exec_lo, s25
	v_lshlrev_b32_e32 v30, 24, v30
	s_delay_alu instid0(VALU_DEP_1) | instskip(NEXT) | instid1(VALU_DEP_1)
	v_and_b32_e32 v30, 0x80000000, v30
	v_lshl_add_u32 v5, v5, 23, v30
                                        ; implicit-def: $vgpr30
	s_delay_alu instid0(VALU_DEP_1) | instskip(NEXT) | instid1(VALU_DEP_1)
	v_lshl_or_b32 v5, v44, 21, v5
                                        ; implicit-def: $vgpr44
	v_add_nc_u32_e32 v5, 0x38000000, v5
.LBB2_303:                              ;   in Loop: Header=BB2_130 Depth=3
	s_and_not1_saveexec_b32 s24, s24
; %bb.304:                              ;   in Loop: Header=BB2_130 Depth=3
	v_bfe_i32 v5, v30, 0, 8
	s_delay_alu instid0(VALU_DEP_1) | instskip(SKIP_2) | instid1(VALU_DEP_2)
	v_cmp_lt_i16_e32 vcc_lo, -1, v5
	v_cndmask_b32_e32 v5, 0xff800000, v21, vcc_lo
	v_cmp_eq_u32_e32 vcc_lo, 0, v44
	v_cndmask_b32_e32 v5, 0x7f800001, v5, vcc_lo
; %bb.305:                              ;   in Loop: Header=BB2_130 Depth=3
	s_or_b32 exec_lo, exec_lo, s24
.LBB2_306:                              ;   in Loop: Header=BB2_130 Depth=3
	s_delay_alu instid0(SALU_CYCLE_1)
	s_or_b32 exec_lo, exec_lo, s23
.LBB2_307:                              ;   in Loop: Header=BB2_130 Depth=3
	s_delay_alu instid0(SALU_CYCLE_1) | instskip(SKIP_2) | instid1(VALU_DEP_1)
	s_or_b32 exec_lo, exec_lo, s22
	v_lshrrev_b32_e32 v44, 16, v4
	s_mov_b32 s22, exec_lo
	v_and_b32_e32 v30, 0xff, v44
	s_delay_alu instid0(VALU_DEP_1)
	v_cmpx_ne_u16_e32 0, v30
	s_cbranch_execz .LBB2_317
; %bb.308:                              ;   in Loop: Header=BB2_130 Depth=3
	v_bfrev_b32_e32 v17, 1
	s_mov_b32 s23, exec_lo
	v_cmpx_ne_u16_e32 0x80, v30
	s_cbranch_execz .LBB2_316
; %bb.309:                              ;   in Loop: Header=BB2_130 Depth=3
	v_and_b32_e32 v17, 0x7c0000, v4
	v_bfe_u32 v30, v4, 16, 2
	s_delay_alu instid0(VALU_DEP_2) | instskip(SKIP_1) | instid1(SALU_CYCLE_1)
	v_cmp_ne_u32_e32 vcc_lo, 0x7c0000, v17
                                        ; implicit-def: $vgpr17
	s_and_saveexec_b32 s24, vcc_lo
	s_xor_b32 s24, exec_lo, s24
	s_cbranch_execz .LBB2_313
; %bb.310:                              ;   in Loop: Header=BB2_130 Depth=3
	v_bfe_u32 v17, v4, 18, 5
	s_mov_b32 s25, exec_lo
	s_delay_alu instid0(VALU_DEP_1)
	v_cmpx_eq_u32_e32 0, v17
; %bb.311:                              ;   in Loop: Header=BB2_130 Depth=3
	v_clz_i32_u32_e32 v17, v30
	s_delay_alu instid0(VALU_DEP_1) | instskip(NEXT) | instid1(VALU_DEP_1)
	v_min_u32_e32 v17, 32, v17
	v_subrev_nc_u32_e32 v30, 29, v17
	s_delay_alu instid0(VALU_DEP_1) | instskip(NEXT) | instid1(VALU_DEP_1)
	v_lshlrev_b64_e32 v[44:45], v30, v[2:3]
	v_dual_sub_nc_u32 v17, 30, v17 :: v_dual_bitop2_b32 v30, 3, v44 bitop3:0x40
; %bb.312:                              ;   in Loop: Header=BB2_130 Depth=3
	s_or_b32 exec_lo, exec_lo, s25
	v_lshlrev_b32_e32 v2, 24, v2
                                        ; implicit-def: $vgpr44
	s_delay_alu instid0(VALU_DEP_1) | instskip(NEXT) | instid1(VALU_DEP_1)
	v_and_b32_e32 v2, 0x80000000, v2
	v_lshl_add_u32 v2, v17, 23, v2
	s_delay_alu instid0(VALU_DEP_1) | instskip(NEXT) | instid1(VALU_DEP_1)
	v_lshl_or_b32 v2, v30, 21, v2
                                        ; implicit-def: $vgpr30
	v_add_nc_u32_e32 v17, 0x38000000, v2
.LBB2_313:                              ;   in Loop: Header=BB2_130 Depth=3
	s_and_not1_saveexec_b32 s24, s24
; %bb.314:                              ;   in Loop: Header=BB2_130 Depth=3
	v_bfe_i32 v2, v44, 0, 8
	s_delay_alu instid0(VALU_DEP_1) | instskip(SKIP_2) | instid1(VALU_DEP_2)
	v_cmp_lt_i16_e32 vcc_lo, -1, v2
	v_cndmask_b32_e32 v2, 0xff800000, v21, vcc_lo
	v_cmp_eq_u32_e32 vcc_lo, 0, v30
	v_cndmask_b32_e32 v17, 0x7f800001, v2, vcc_lo
; %bb.315:                              ;   in Loop: Header=BB2_130 Depth=3
	s_or_b32 exec_lo, exec_lo, s24
.LBB2_316:                              ;   in Loop: Header=BB2_130 Depth=3
	s_delay_alu instid0(SALU_CYCLE_1)
	s_or_b32 exec_lo, exec_lo, s23
.LBB2_317:                              ;   in Loop: Header=BB2_130 Depth=3
	s_delay_alu instid0(SALU_CYCLE_1) | instskip(NEXT) | instid1(VALU_DEP_1)
	s_or_b32 exec_lo, exec_lo, s22
	v_max_num_f32_e32 v2, v17, v17
	v_max_num_f32_e32 v5, v5, v5
	s_delay_alu instid0(VALU_DEP_1)
	v_min_num_f32_e32 v5, v5, v2
.LBB2_318:                              ;   in Loop: Header=BB2_130 Depth=3
	s_or_b32 exec_lo, exec_lo, s9
	s_delay_alu instid0(VALU_DEP_1) | instskip(SKIP_3) | instid1(VALU_DEP_3)
	v_and_b32_e32 v46, 0x7f800000, v5
	v_dual_mov_b32 v47, v55 :: v_dual_mov_b32 v45, v55
	v_and_b32_e32 v44, 0x7fffff, v5
	v_lshrrev_b32_e32 v2, 24, v5
	v_cmp_ne_u64_e32 vcc_lo, 0x7f800000, v[46:47]
                                        ; implicit-def: $vgpr46
	s_and_saveexec_b32 s9, vcc_lo
	s_delay_alu instid0(SALU_CYCLE_1)
	s_xor_b32 s22, exec_lo, s9
	s_cbranch_execz .LBB2_332
; %bb.319:                              ;   in Loop: Header=BB2_130 Depth=3
	v_and_b32_e32 v46, 0x7fffffff, v5
	v_mov_b32_e32 v47, v55
	v_and_b32_e32 v2, 0x80, v2
	s_delay_alu instid0(VALU_DEP_2) | instskip(SKIP_1) | instid1(SALU_CYCLE_1)
	v_cmp_gt_u64_e32 vcc_lo, 0x47600001, v[46:47]
                                        ; implicit-def: $vgpr46
	s_and_saveexec_b32 s9, vcc_lo
	s_xor_b32 s23, exec_lo, s9
	s_cbranch_execz .LBB2_329
; %bb.320:                              ;   in Loop: Header=BB2_130 Depth=3
	v_mov_b32_e32 v46, 0
	s_mov_b32 s24, exec_lo
	v_cmpx_ne_u32_e32 0, v5
	s_cbranch_execz .LBB2_328
; %bb.321:                              ;   in Loop: Header=BB2_130 Depth=3
	v_bfe_u32 v5, v5, 23, 8
	v_or_b32_e32 v78, 0x800000, v44
	s_delay_alu instid0(VALU_DEP_2) | instskip(SKIP_1) | instid1(VALU_DEP_2)
	v_sub_nc_u32_e32 v17, 0x71, v5
	v_cmp_gt_u32_e32 vcc_lo, 0x72, v5
	v_cndmask_b32_e32 v17, 0, v17, vcc_lo
	v_cmp_eq_u32_e32 vcc_lo, 0, v5
	s_delay_alu instid0(VALU_DEP_2) | instskip(NEXT) | instid1(VALU_DEP_1)
	v_cndmask_b32_e64 v17, v17, 0x70, vcc_lo
	v_dual_cndmask_b32 v44, v78, v44, vcc_lo :: v_dual_add_nc_u32 v30, 21, v17
	s_delay_alu instid0(VALU_DEP_1) | instskip(SKIP_1) | instid1(VALU_DEP_1)
	v_lshlrev_b64_e64 v[46:47], v30, -1
	v_add_nc_u32_e32 v30, 20, v17
	v_lshlrev_b64_e64 v[78:79], v30, 1
	s_delay_alu instid0(VALU_DEP_3) | instskip(SKIP_2) | instid1(VALU_DEP_1)
	v_bfi_b32 v46, v46, 0, v44
	v_lshrrev_b64 v[44:45], v17, v[44:45]
	v_bfi_b32 v47, v47, 0, 0
	v_cmp_eq_u64_e64 s9, v[46:47], v[78:79]
	s_delay_alu instid0(VALU_DEP_3)
	v_mov_b64_e32 v[46:47], v[44:45]
	s_and_saveexec_b32 s25, s9
; %bb.322:                              ;   in Loop: Header=BB2_130 Depth=3
	v_bfe_u32 v46, v44, 21, 1
	v_mov_b32_e32 v47, v55
	s_delay_alu instid0(VALU_DEP_1) | instskip(NEXT) | instid1(VALU_DEP_1)
	v_add_nc_u64_e32 v[46:47], v[44:45], v[46:47]
	v_add_nc_u64_e32 v[46:47], -1, v[46:47]
; %bb.323:                              ;   in Loop: Header=BB2_130 Depth=3
	s_or_b32 exec_lo, exec_lo, s25
	v_add_nc_u32_e32 v5, 0xffffff81, v5
	v_lshrrev_b32_e32 v30, 23, v44
	s_mov_b32 s9, exec_lo
	v_mov_b32_e32 v45, v55
	s_delay_alu instid0(VALU_DEP_3) | instskip(NEXT) | instid1(VALU_DEP_1)
	v_cndmask_b32_e64 v5, v5, 0xffffff82, vcc_lo
	v_add3_u32 v17, v17, v5, v30
	v_and_b32_e32 v5, 0x1fffff, v46
	s_delay_alu instid0(VALU_DEP_1) | instskip(NEXT) | instid1(VALU_DEP_1)
	v_dual_add_nc_u32 v30, 14, v17 :: v_dual_add_nc_u32 v44, v5, v44
                                        ; implicit-def: $vgpr5
	v_cmpx_ne_u32_e32 0, v30
	s_xor_b32 s9, exec_lo, s9
; %bb.324:                              ;   in Loop: Header=BB2_130 Depth=3
	s_delay_alu instid0(VALU_DEP_2) | instskip(SKIP_2) | instid1(VALU_DEP_2)
	v_cmp_lt_u64_e32 vcc_lo, 0xffffff, v[44:45]
	v_add_nc_u32_e32 v5, 15, v17
	v_cndmask_b32_e64 v17, 0, 1, vcc_lo
	v_cndmask_b32_e32 v5, v30, v5, vcc_lo
	s_delay_alu instid0(VALU_DEP_2)
	v_lshrrev_b64 v[44:45], v17, v[44:45]
; %bb.325:                              ;   in Loop: Header=BB2_130 Depth=3
	s_and_not1_saveexec_b32 s9, s9
; %bb.326:                              ;   in Loop: Header=BB2_130 Depth=3
	s_delay_alu instid0(VALU_DEP_1)
	v_bfe_u32 v5, v44, 23, 1
; %bb.327:                              ;   in Loop: Header=BB2_130 Depth=3
	s_or_b32 exec_lo, exec_lo, s9
	s_delay_alu instid0(VALU_DEP_2) | instskip(NEXT) | instid1(VALU_DEP_2)
	v_lshrrev_b64 v[44:45], 21, v[44:45]
	v_cmp_gt_i32_e32 vcc_lo, 32, v5
	v_min_i32_e32 v17, 31, v5
	v_cmp_eq_u32_e64 s9, 0, v5
	s_delay_alu instid0(VALU_DEP_2) | instskip(SKIP_1) | instid1(VALU_DEP_2)
	v_dual_cndmask_b32 v44, 3, v44 :: v_dual_lshlrev_b32 v17, 2, v17
	v_cndmask_b32_e32 v45, 0, v45, vcc_lo
	v_and_b32_e32 v17, 0xfc, v17
	s_delay_alu instid0(VALU_DEP_2) | instskip(NEXT) | instid1(VALU_DEP_2)
	v_cmp_eq_u64_e32 vcc_lo, 0, v[44:45]
	v_and_or_b32 v5, v44, 3, v17
	s_and_b32 s9, s9, vcc_lo
	s_delay_alu instid0(VALU_DEP_1) | instid1(SALU_CYCLE_1)
	v_cndmask_b32_e64 v5, v5, 0, s9
	s_delay_alu instid0(VALU_DEP_1)
	v_or_b32_e32 v46, v5, v2
.LBB2_328:                              ;   in Loop: Header=BB2_130 Depth=3
	s_or_b32 exec_lo, exec_lo, s24
                                        ; implicit-def: $vgpr2
.LBB2_329:                              ;   in Loop: Header=BB2_130 Depth=3
	s_and_not1_saveexec_b32 s9, s23
; %bb.330:                              ;   in Loop: Header=BB2_130 Depth=3
	v_or_b32_e32 v46, 0x7b, v2
; %bb.331:                              ;   in Loop: Header=BB2_130 Depth=3
	s_or_b32 exec_lo, exec_lo, s9
                                        ; implicit-def: $vgpr5
                                        ; implicit-def: $vgpr44_vgpr45
                                        ; implicit-def: $vgpr2
.LBB2_332:                              ;   in Loop: Header=BB2_130 Depth=3
	s_and_not1_saveexec_b32 s9, s22
	s_cbranch_execz .LBB2_338
; %bb.333:                              ;   in Loop: Header=BB2_130 Depth=3
	s_mov_b32 s22, exec_lo
                                        ; implicit-def: $vgpr46
	v_cmpx_ne_u64_e32 0, v[44:45]
	s_xor_b32 s22, exec_lo, s22
; %bb.334:                              ;   in Loop: Header=BB2_130 Depth=3
	v_or_b32_e32 v46, 0x7f, v2
                                        ; implicit-def: $vgpr5
; %bb.335:                              ;   in Loop: Header=BB2_130 Depth=3
	s_and_not1_saveexec_b32 s22, s22
; %bb.336:                              ;   in Loop: Header=BB2_130 Depth=3
	v_cmp_lt_i32_e32 vcc_lo, -1, v5
	v_cndmask_b32_e32 v46, 0xfc, v58, vcc_lo
; %bb.337:                              ;   in Loop: Header=BB2_130 Depth=3
	s_or_b32 exec_lo, exec_lo, s22
.LBB2_338:                              ;   in Loop: Header=BB2_130 Depth=3
	s_delay_alu instid0(SALU_CYCLE_1) | instskip(SKIP_4) | instid1(SALU_CYCLE_1)
	s_or_b32 exec_lo, exec_lo, s9
	v_lshrrev_b32_e32 v30, 24, v16
	v_lshrrev_b32_e32 v2, 24, v4
	v_cmp_lt_u32_e32 vcc_lo, 0xffffff, v16
                                        ; implicit-def: $vgpr17
	s_and_saveexec_b32 s9, s6
	s_xor_b32 s22, exec_lo, s9
	s_cbranch_execz .LBB2_360
; %bb.339:                              ;   in Loop: Header=BB2_130 Depth=3
	v_dual_mov_b32 v44, 0 :: v_dual_mov_b32 v17, 0
	s_and_saveexec_b32 s23, vcc_lo
	s_cbranch_execz .LBB2_349
; %bb.340:                              ;   in Loop: Header=BB2_130 Depth=3
	v_bfrev_b32_e32 v17, 1
	s_mov_b32 s24, exec_lo
	v_cmpx_ne_u32_e32 0x80, v30
	s_cbranch_execz .LBB2_348
; %bb.341:                              ;   in Loop: Header=BB2_130 Depth=3
	v_and_b32_e32 v17, 0x7c000000, v16
	v_bfe_u32 v5, v16, 24, 2
	s_delay_alu instid0(VALU_DEP_2) | instskip(SKIP_1) | instid1(SALU_CYCLE_1)
	v_cmp_ne_u32_e64 s9, 0x7c000000, v17
                                        ; implicit-def: $vgpr17
	s_and_saveexec_b32 s25, s9
	s_xor_b32 s25, exec_lo, s25
	s_cbranch_execz .LBB2_345
; %bb.342:                              ;   in Loop: Header=BB2_130 Depth=3
	v_bfe_u32 v17, v16, 26, 5
	s_mov_b32 s26, exec_lo
	s_delay_alu instid0(VALU_DEP_1)
	v_cmpx_eq_u32_e32 0, v17
; %bb.343:                              ;   in Loop: Header=BB2_130 Depth=3
	v_clz_i32_u32_e32 v5, v5
	s_delay_alu instid0(VALU_DEP_1) | instskip(NEXT) | instid1(VALU_DEP_1)
	v_min_u32_e32 v5, 32, v5
	v_subrev_nc_u32_e32 v17, 29, v5
	s_delay_alu instid0(VALU_DEP_1) | instskip(NEXT) | instid1(VALU_DEP_1)
	v_lshlrev_b64_e32 v[78:79], v17, v[30:31]
	v_dual_sub_nc_u32 v17, 30, v5 :: v_dual_bitop2_b32 v5, 3, v78 bitop3:0x40
; %bb.344:                              ;   in Loop: Header=BB2_130 Depth=3
	s_or_b32 exec_lo, exec_lo, s26
	v_and_b32_e32 v16, 0x80000000, v16
	s_delay_alu instid0(VALU_DEP_1) | instskip(NEXT) | instid1(VALU_DEP_1)
	v_lshl_add_u32 v16, v17, 23, v16
	v_lshl_or_b32 v5, v5, 21, v16
	s_delay_alu instid0(VALU_DEP_1)
	v_add_nc_u32_e32 v17, 0x38000000, v5
                                        ; implicit-def: $vgpr5
.LBB2_345:                              ;   in Loop: Header=BB2_130 Depth=3
	s_and_not1_saveexec_b32 s25, s25
; %bb.346:                              ;   in Loop: Header=BB2_130 Depth=3
	v_cmp_lt_i32_e64 s9, -1, v16
	s_delay_alu instid0(VALU_DEP_1) | instskip(SKIP_1) | instid1(VALU_DEP_1)
	v_cndmask_b32_e64 v16, 0xff800000, v21, s9
	v_cmp_eq_u32_e64 s9, 0, v5
	v_cndmask_b32_e64 v17, 0x7f800001, v16, s9
; %bb.347:                              ;   in Loop: Header=BB2_130 Depth=3
	s_or_b32 exec_lo, exec_lo, s25
.LBB2_348:                              ;   in Loop: Header=BB2_130 Depth=3
	s_delay_alu instid0(SALU_CYCLE_1)
	s_or_b32 exec_lo, exec_lo, s24
.LBB2_349:                              ;   in Loop: Header=BB2_130 Depth=3
	s_delay_alu instid0(SALU_CYCLE_1) | instskip(NEXT) | instid1(SALU_CYCLE_1)
	s_or_b32 exec_lo, exec_lo, s23
	s_mov_b32 s23, exec_lo
	v_cmpx_lt_u32_e32 0xffffff, v4
	s_cbranch_execz .LBB2_359
; %bb.350:                              ;   in Loop: Header=BB2_130 Depth=3
	v_bfrev_b32_e32 v44, 1
	s_mov_b32 s24, exec_lo
	v_cmpx_ne_u32_e32 0x80, v2
	s_cbranch_execz .LBB2_358
; %bb.351:                              ;   in Loop: Header=BB2_130 Depth=3
	v_and_b32_e32 v5, 0x7c000000, v4
	v_bfe_u32 v16, v4, 24, 2
	s_mov_b32 s25, exec_lo
                                        ; implicit-def: $vgpr44
	s_delay_alu instid0(VALU_DEP_2)
	v_cmpx_ne_u32_e32 0x7c000000, v5
	s_xor_b32 s25, exec_lo, s25
	s_cbranch_execz .LBB2_355
; %bb.352:                              ;   in Loop: Header=BB2_130 Depth=3
	v_bfe_u32 v5, v4, 26, 5
	s_mov_b32 s26, exec_lo
	s_delay_alu instid0(VALU_DEP_1)
	v_cmpx_eq_u32_e32 0, v5
; %bb.353:                              ;   in Loop: Header=BB2_130 Depth=3
	v_clz_i32_u32_e32 v5, v16
	s_delay_alu instid0(VALU_DEP_1) | instskip(NEXT) | instid1(VALU_DEP_1)
	v_min_u32_e32 v5, 32, v5
	v_subrev_nc_u32_e32 v16, 29, v5
	s_delay_alu instid0(VALU_DEP_1) | instskip(NEXT) | instid1(VALU_DEP_1)
	v_lshlrev_b64_e32 v[44:45], v16, v[2:3]
	v_dual_sub_nc_u32 v5, 30, v5 :: v_dual_bitop2_b32 v16, 3, v44 bitop3:0x40
; %bb.354:                              ;   in Loop: Header=BB2_130 Depth=3
	s_or_b32 exec_lo, exec_lo, s26
	v_and_b32_e32 v2, 0x80000000, v4
	s_delay_alu instid0(VALU_DEP_1) | instskip(NEXT) | instid1(VALU_DEP_1)
	v_lshl_add_u32 v2, v5, 23, v2
                                        ; implicit-def: $vgpr4_vgpr5
	v_lshl_or_b32 v2, v16, 21, v2
                                        ; implicit-def: $vgpr16
	s_delay_alu instid0(VALU_DEP_1)
	v_add_nc_u32_e32 v44, 0x38000000, v2
.LBB2_355:                              ;   in Loop: Header=BB2_130 Depth=3
	s_and_not1_saveexec_b32 s25, s25
; %bb.356:                              ;   in Loop: Header=BB2_130 Depth=3
	v_cmp_lt_i32_e64 s9, -1, v4
	s_delay_alu instid0(VALU_DEP_1) | instskip(SKIP_1) | instid1(VALU_DEP_1)
	v_cndmask_b32_e64 v2, 0xff800000, v21, s9
	v_cmp_eq_u32_e64 s9, 0, v16
	v_cndmask_b32_e64 v44, 0x7f800001, v2, s9
; %bb.357:                              ;   in Loop: Header=BB2_130 Depth=3
	s_or_b32 exec_lo, exec_lo, s25
.LBB2_358:                              ;   in Loop: Header=BB2_130 Depth=3
	s_delay_alu instid0(SALU_CYCLE_1)
	s_or_b32 exec_lo, exec_lo, s24
.LBB2_359:                              ;   in Loop: Header=BB2_130 Depth=3
	s_delay_alu instid0(SALU_CYCLE_1) | instskip(NEXT) | instid1(VALU_DEP_1)
	s_or_b32 exec_lo, exec_lo, s23
	v_dual_max_num_f32 v2, v44, v44 :: v_dual_max_num_f32 v4, v17, v17
                                        ; implicit-def: $vgpr30
	s_delay_alu instid0(VALU_DEP_1)
	v_max_num_f32_e32 v17, v4, v2
                                        ; implicit-def: $vgpr4_vgpr5
                                        ; implicit-def: $vgpr2
.LBB2_360:                              ;   in Loop: Header=BB2_130 Depth=3
	s_and_not1_saveexec_b32 s9, s22
	s_cbranch_execz .LBB2_382
; %bb.361:                              ;   in Loop: Header=BB2_130 Depth=3
	v_dual_mov_b32 v44, 0 :: v_dual_mov_b32 v17, 0
	s_and_saveexec_b32 s22, vcc_lo
	s_cbranch_execz .LBB2_371
; %bb.362:                              ;   in Loop: Header=BB2_130 Depth=3
	v_bfrev_b32_e32 v17, 1
	s_mov_b32 s23, exec_lo
	v_cmpx_ne_u32_e32 0x80, v30
	s_cbranch_execz .LBB2_370
; %bb.363:                              ;   in Loop: Header=BB2_130 Depth=3
	v_and_b32_e32 v17, 0x7c000000, v16
	v_bfe_u32 v5, v16, 24, 2
	s_delay_alu instid0(VALU_DEP_2) | instskip(SKIP_1) | instid1(SALU_CYCLE_1)
	v_cmp_ne_u32_e32 vcc_lo, 0x7c000000, v17
                                        ; implicit-def: $vgpr17
	s_and_saveexec_b32 s24, vcc_lo
	s_xor_b32 s24, exec_lo, s24
	s_cbranch_execz .LBB2_367
; %bb.364:                              ;   in Loop: Header=BB2_130 Depth=3
	v_bfe_u32 v17, v16, 26, 5
	s_mov_b32 s25, exec_lo
	s_delay_alu instid0(VALU_DEP_1)
	v_cmpx_eq_u32_e32 0, v17
; %bb.365:                              ;   in Loop: Header=BB2_130 Depth=3
	v_clz_i32_u32_e32 v5, v5
	s_delay_alu instid0(VALU_DEP_1) | instskip(NEXT) | instid1(VALU_DEP_1)
	v_min_u32_e32 v5, 32, v5
	v_subrev_nc_u32_e32 v17, 29, v5
	s_delay_alu instid0(VALU_DEP_1) | instskip(NEXT) | instid1(VALU_DEP_1)
	v_lshlrev_b64_e32 v[78:79], v17, v[30:31]
	v_dual_sub_nc_u32 v17, 30, v5 :: v_dual_bitop2_b32 v5, 3, v78 bitop3:0x40
; %bb.366:                              ;   in Loop: Header=BB2_130 Depth=3
	s_or_b32 exec_lo, exec_lo, s25
	v_and_b32_e32 v16, 0x80000000, v16
	s_delay_alu instid0(VALU_DEP_1) | instskip(NEXT) | instid1(VALU_DEP_1)
	v_lshl_add_u32 v16, v17, 23, v16
	v_lshl_or_b32 v5, v5, 21, v16
	s_delay_alu instid0(VALU_DEP_1)
	v_add_nc_u32_e32 v17, 0x38000000, v5
                                        ; implicit-def: $vgpr5
.LBB2_367:                              ;   in Loop: Header=BB2_130 Depth=3
	s_and_not1_saveexec_b32 s24, s24
; %bb.368:                              ;   in Loop: Header=BB2_130 Depth=3
	v_cmp_lt_i32_e32 vcc_lo, -1, v16
	v_cndmask_b32_e32 v16, 0xff800000, v21, vcc_lo
	v_cmp_eq_u32_e32 vcc_lo, 0, v5
	s_delay_alu instid0(VALU_DEP_2)
	v_cndmask_b32_e32 v17, 0x7f800001, v16, vcc_lo
; %bb.369:                              ;   in Loop: Header=BB2_130 Depth=3
	s_or_b32 exec_lo, exec_lo, s24
.LBB2_370:                              ;   in Loop: Header=BB2_130 Depth=3
	s_delay_alu instid0(SALU_CYCLE_1)
	s_or_b32 exec_lo, exec_lo, s23
.LBB2_371:                              ;   in Loop: Header=BB2_130 Depth=3
	s_delay_alu instid0(SALU_CYCLE_1) | instskip(NEXT) | instid1(SALU_CYCLE_1)
	s_or_b32 exec_lo, exec_lo, s22
	s_mov_b32 s22, exec_lo
	v_cmpx_lt_u32_e32 0xffffff, v4
	s_cbranch_execz .LBB2_381
; %bb.372:                              ;   in Loop: Header=BB2_130 Depth=3
	v_bfrev_b32_e32 v44, 1
	s_mov_b32 s23, exec_lo
	v_cmpx_ne_u32_e32 0x80, v2
	s_cbranch_execz .LBB2_380
; %bb.373:                              ;   in Loop: Header=BB2_130 Depth=3
	v_and_b32_e32 v5, 0x7c000000, v4
	v_bfe_u32 v16, v4, 24, 2
	s_mov_b32 s24, exec_lo
                                        ; implicit-def: $vgpr44
	s_delay_alu instid0(VALU_DEP_2)
	v_cmpx_ne_u32_e32 0x7c000000, v5
	s_xor_b32 s24, exec_lo, s24
	s_cbranch_execz .LBB2_377
; %bb.374:                              ;   in Loop: Header=BB2_130 Depth=3
	v_bfe_u32 v5, v4, 26, 5
	s_mov_b32 s25, exec_lo
	s_delay_alu instid0(VALU_DEP_1)
	v_cmpx_eq_u32_e32 0, v5
; %bb.375:                              ;   in Loop: Header=BB2_130 Depth=3
	v_clz_i32_u32_e32 v5, v16
	s_delay_alu instid0(VALU_DEP_1) | instskip(NEXT) | instid1(VALU_DEP_1)
	v_min_u32_e32 v5, 32, v5
	v_subrev_nc_u32_e32 v16, 29, v5
	s_delay_alu instid0(VALU_DEP_1) | instskip(NEXT) | instid1(VALU_DEP_1)
	v_lshlrev_b64_e32 v[44:45], v16, v[2:3]
	v_dual_sub_nc_u32 v5, 30, v5 :: v_dual_bitop2_b32 v16, 3, v44 bitop3:0x40
; %bb.376:                              ;   in Loop: Header=BB2_130 Depth=3
	s_or_b32 exec_lo, exec_lo, s25
	v_and_b32_e32 v2, 0x80000000, v4
	s_delay_alu instid0(VALU_DEP_1) | instskip(NEXT) | instid1(VALU_DEP_1)
	v_lshl_add_u32 v2, v5, 23, v2
                                        ; implicit-def: $vgpr4_vgpr5
	v_lshl_or_b32 v2, v16, 21, v2
                                        ; implicit-def: $vgpr16
	s_delay_alu instid0(VALU_DEP_1)
	v_add_nc_u32_e32 v44, 0x38000000, v2
.LBB2_377:                              ;   in Loop: Header=BB2_130 Depth=3
	s_and_not1_saveexec_b32 s24, s24
; %bb.378:                              ;   in Loop: Header=BB2_130 Depth=3
	v_cmp_lt_i32_e32 vcc_lo, -1, v4
	v_cndmask_b32_e32 v2, 0xff800000, v21, vcc_lo
	v_cmp_eq_u32_e32 vcc_lo, 0, v16
	s_delay_alu instid0(VALU_DEP_2)
	v_cndmask_b32_e32 v44, 0x7f800001, v2, vcc_lo
; %bb.379:                              ;   in Loop: Header=BB2_130 Depth=3
	s_or_b32 exec_lo, exec_lo, s24
.LBB2_380:                              ;   in Loop: Header=BB2_130 Depth=3
	s_delay_alu instid0(SALU_CYCLE_1)
	s_or_b32 exec_lo, exec_lo, s23
.LBB2_381:                              ;   in Loop: Header=BB2_130 Depth=3
	s_delay_alu instid0(SALU_CYCLE_1) | instskip(NEXT) | instid1(VALU_DEP_1)
	s_or_b32 exec_lo, exec_lo, s22
	v_dual_max_num_f32 v2, v44, v44 :: v_dual_max_num_f32 v4, v17, v17
	s_delay_alu instid0(VALU_DEP_1)
	v_min_num_f32_e32 v17, v4, v2
.LBB2_382:                              ;   in Loop: Header=BB2_130 Depth=3
	s_or_b32 exec_lo, exec_lo, s9
	s_delay_alu instid0(VALU_DEP_1) | instskip(SKIP_4) | instid1(VALU_DEP_3)
	v_and_b32_e32 v44, 0x7f800000, v17
	v_dual_mov_b32 v45, v55 :: v_dual_mov_b32 v5, v55
	v_and_b32_e32 v4, 0x7fffff, v17
	v_lshrrev_b32_e32 v2, 24, v17
                                        ; implicit-def: $vgpr47
	s_mov_b32 s9, exec_lo
	v_cmpx_ne_u64_e32 0x7f800000, v[44:45]
	s_xor_b32 s22, exec_lo, s9
	s_cbranch_execz .LBB2_396
; %bb.383:                              ;   in Loop: Header=BB2_130 Depth=3
	v_and_b32_e32 v44, 0x7fffffff, v17
	v_mov_b32_e32 v45, v55
	v_and_b32_e32 v2, 0x80, v2
                                        ; implicit-def: $vgpr47
	s_mov_b32 s9, exec_lo
	s_delay_alu instid0(VALU_DEP_2)
	v_cmpx_gt_u64_e32 0x47600001, v[44:45]
	s_xor_b32 s23, exec_lo, s9
	s_cbranch_execz .LBB2_393
; %bb.384:                              ;   in Loop: Header=BB2_130 Depth=3
	v_mov_b32_e32 v47, 0
	s_mov_b32 s24, exec_lo
	v_cmpx_ne_u32_e32 0, v17
	s_cbranch_execz .LBB2_392
; %bb.385:                              ;   in Loop: Header=BB2_130 Depth=3
	v_bfe_u32 v30, v17, 23, 8
	v_or_b32_e32 v45, 0x800000, v4
	s_delay_alu instid0(VALU_DEP_2) | instskip(SKIP_1) | instid1(VALU_DEP_2)
	v_sub_nc_u32_e32 v16, 0x71, v30
	v_cmp_gt_u32_e32 vcc_lo, 0x72, v30
	v_cndmask_b32_e32 v16, 0, v16, vcc_lo
	v_cmp_eq_u32_e32 vcc_lo, 0, v30
	s_delay_alu instid0(VALU_DEP_2) | instskip(SKIP_1) | instid1(VALU_DEP_2)
	v_cndmask_b32_e64 v44, v16, 0x70, vcc_lo
	v_cndmask_b32_e32 v4, v45, v4, vcc_lo
	v_dual_add_nc_u32 v16, 21, v44 :: v_dual_add_nc_u32 v47, 20, v44
	s_delay_alu instid0(VALU_DEP_1) | instskip(NEXT) | instid1(VALU_DEP_2)
	v_lshlrev_b64_e64 v[16:17], v16, -1
	v_lshlrev_b64_e64 v[78:79], v47, 1
	s_delay_alu instid0(VALU_DEP_2) | instskip(SKIP_1) | instid1(VALU_DEP_4)
	v_bfi_b32 v16, v16, 0, v4
	v_lshrrev_b64 v[4:5], v44, v[4:5]
	v_bfi_b32 v17, v17, 0, 0
	s_delay_alu instid0(VALU_DEP_1) | instskip(NEXT) | instid1(VALU_DEP_3)
	v_cmp_eq_u64_e64 s9, v[16:17], v[78:79]
	v_mov_b64_e32 v[16:17], v[4:5]
	s_and_saveexec_b32 s25, s9
; %bb.386:                              ;   in Loop: Header=BB2_130 Depth=3
	v_bfe_u32 v16, v4, 21, 1
	v_mov_b32_e32 v17, v55
	s_delay_alu instid0(VALU_DEP_1) | instskip(NEXT) | instid1(VALU_DEP_1)
	v_add_nc_u64_e32 v[16:17], v[4:5], v[16:17]
	v_add_nc_u64_e32 v[16:17], -1, v[16:17]
; %bb.387:                              ;   in Loop: Header=BB2_130 Depth=3
	s_or_b32 exec_lo, exec_lo, s25
	v_add_nc_u32_e32 v5, 0xffffff81, v30
	v_lshrrev_b32_e32 v17, 23, v4
	s_mov_b32 s9, exec_lo
	s_delay_alu instid0(VALU_DEP_2) | instskip(NEXT) | instid1(VALU_DEP_1)
	v_cndmask_b32_e64 v5, v5, 0xffffff82, vcc_lo
	v_add3_u32 v17, v44, v5, v17
	v_and_b32_e32 v5, 0x1fffff, v16
                                        ; implicit-def: $vgpr16
	s_delay_alu instid0(VALU_DEP_1) | instskip(SKIP_1) | instid1(VALU_DEP_2)
	v_dual_add_nc_u32 v30, 14, v17 :: v_dual_add_nc_u32 v4, v5, v4
	v_mov_b32_e32 v5, v55
	v_cmpx_ne_u32_e32 0, v30
	s_xor_b32 s9, exec_lo, s9
; %bb.388:                              ;   in Loop: Header=BB2_130 Depth=3
	s_delay_alu instid0(VALU_DEP_2) | instskip(SKIP_2) | instid1(VALU_DEP_2)
	v_cmp_lt_u64_e32 vcc_lo, 0xffffff, v[4:5]
	v_add_nc_u32_e32 v16, 15, v17
	v_cndmask_b32_e64 v17, 0, 1, vcc_lo
	v_cndmask_b32_e32 v16, v30, v16, vcc_lo
	s_delay_alu instid0(VALU_DEP_2)
	v_lshrrev_b64 v[4:5], v17, v[4:5]
; %bb.389:                              ;   in Loop: Header=BB2_130 Depth=3
	s_and_not1_saveexec_b32 s9, s9
; %bb.390:                              ;   in Loop: Header=BB2_130 Depth=3
	s_delay_alu instid0(VALU_DEP_1)
	v_bfe_u32 v16, v4, 23, 1
; %bb.391:                              ;   in Loop: Header=BB2_130 Depth=3
	s_or_b32 exec_lo, exec_lo, s9
	s_delay_alu instid0(VALU_DEP_2) | instskip(NEXT) | instid1(VALU_DEP_2)
	v_lshrrev_b64 v[4:5], 21, v[4:5]
	v_cmp_gt_i32_e32 vcc_lo, 32, v16
	v_min_i32_e32 v17, 31, v16
	v_cmp_eq_u32_e64 s9, 0, v16
	s_delay_alu instid0(VALU_DEP_4) | instskip(NEXT) | instid1(VALU_DEP_3)
	v_cndmask_b32_e32 v5, 0, v5, vcc_lo
	v_dual_cndmask_b32 v4, 3, v4 :: v_dual_lshlrev_b32 v17, 2, v17
	s_delay_alu instid0(VALU_DEP_1) | instskip(NEXT) | instid1(VALU_DEP_2)
	v_and_b32_e32 v17, 0xfc, v17
	v_cmp_eq_u64_e32 vcc_lo, 0, v[4:5]
	s_delay_alu instid0(VALU_DEP_2)
	v_and_or_b32 v4, v4, 3, v17
	s_and_b32 s9, s9, vcc_lo
	s_delay_alu instid0(VALU_DEP_1) | instid1(SALU_CYCLE_1)
	v_cndmask_b32_e64 v4, v4, 0, s9
	s_delay_alu instid0(VALU_DEP_1)
	v_or_b32_e32 v47, v4, v2
.LBB2_392:                              ;   in Loop: Header=BB2_130 Depth=3
	s_or_b32 exec_lo, exec_lo, s24
                                        ; implicit-def: $vgpr2
.LBB2_393:                              ;   in Loop: Header=BB2_130 Depth=3
	s_and_not1_saveexec_b32 s9, s23
; %bb.394:                              ;   in Loop: Header=BB2_130 Depth=3
	v_or_b32_e32 v47, 0x7b, v2
; %bb.395:                              ;   in Loop: Header=BB2_130 Depth=3
	s_or_b32 exec_lo, exec_lo, s9
                                        ; implicit-def: $vgpr17
                                        ; implicit-def: $vgpr4_vgpr5
                                        ; implicit-def: $vgpr2
.LBB2_396:                              ;   in Loop: Header=BB2_130 Depth=3
	s_and_not1_saveexec_b32 s9, s22
	s_cbranch_execz .LBB2_402
; %bb.397:                              ;   in Loop: Header=BB2_130 Depth=3
	s_mov_b32 s22, exec_lo
                                        ; implicit-def: $vgpr47
	v_cmpx_ne_u64_e32 0, v[4:5]
	s_xor_b32 s22, exec_lo, s22
; %bb.398:                              ;   in Loop: Header=BB2_130 Depth=3
	v_or_b32_e32 v47, 0x7f, v2
                                        ; implicit-def: $vgpr17
; %bb.399:                              ;   in Loop: Header=BB2_130 Depth=3
	s_and_not1_saveexec_b32 s22, s22
; %bb.400:                              ;   in Loop: Header=BB2_130 Depth=3
	v_cmp_lt_i32_e32 vcc_lo, -1, v17
	v_cndmask_b32_e32 v47, 0xfc, v58, vcc_lo
; %bb.401:                              ;   in Loop: Header=BB2_130 Depth=3
	s_or_b32 exec_lo, exec_lo, s22
.LBB2_402:                              ;   in Loop: Header=BB2_130 Depth=3
	s_delay_alu instid0(SALU_CYCLE_1) | instskip(SKIP_4) | instid1(VALU_DEP_4)
	s_or_b32 exec_lo, exec_lo, s9
	v_alignbit_b32 v4, v75, v76, v77
	v_and_b32_e32 v16, 0xff, v18
	v_mov_b32_e32 v5, v55
	v_bfe_i32 v30, v18, 0, 8
                                        ; implicit-def: $vgpr44
	v_bfe_i32 v2, v4, 0, 8
	s_delay_alu instid0(VALU_DEP_4) | instskip(SKIP_1) | instid1(SALU_CYCLE_1)
	v_cmp_ne_u16_e32 vcc_lo, 0, v16
	s_and_saveexec_b32 s9, s6
	s_xor_b32 s22, exec_lo, s9
	s_cbranch_execz .LBB2_424
; %bb.403:                              ;   in Loop: Header=BB2_130 Depth=3
	v_dual_mov_b32 v17, 0 :: v_dual_mov_b32 v16, 0
	s_and_saveexec_b32 s23, vcc_lo
	s_cbranch_execz .LBB2_413
; %bb.404:                              ;   in Loop: Header=BB2_130 Depth=3
	v_bfrev_b32_e32 v16, 1
	s_mov_b32 s24, exec_lo
	v_cmpx_ne_u16_e32 0xff80, v30
	s_cbranch_execz .LBB2_412
; %bb.405:                              ;   in Loop: Header=BB2_130 Depth=3
	v_and_b32_e32 v16, 0x7c, v18
	v_and_b32_e32 v44, 3, v18
	s_delay_alu instid0(VALU_DEP_2) | instskip(SKIP_1) | instid1(SALU_CYCLE_1)
	v_cmp_ne_u32_e64 s9, 0x7c, v16
                                        ; implicit-def: $vgpr16
	s_and_saveexec_b32 s25, s9
	s_xor_b32 s25, exec_lo, s25
	s_cbranch_execz .LBB2_409
; %bb.406:                              ;   in Loop: Header=BB2_130 Depth=3
	v_bfe_u32 v16, v18, 2, 5
	s_mov_b32 s26, exec_lo
	s_delay_alu instid0(VALU_DEP_1)
	v_cmpx_eq_u32_e32 0, v16
; %bb.407:                              ;   in Loop: Header=BB2_130 Depth=3
	v_clz_i32_u32_e32 v16, v44
	s_delay_alu instid0(VALU_DEP_1) | instskip(NEXT) | instid1(VALU_DEP_1)
	v_min_u32_e32 v16, 32, v16
	v_subrev_nc_u32_e32 v30, 29, v16
	v_sub_nc_u32_e32 v16, 30, v16
	s_delay_alu instid0(VALU_DEP_2) | instskip(NEXT) | instid1(VALU_DEP_1)
	v_lshlrev_b64_e32 v[44:45], v30, v[18:19]
	v_and_b32_e32 v44, 3, v44
; %bb.408:                              ;   in Loop: Header=BB2_130 Depth=3
	s_or_b32 exec_lo, exec_lo, s26
	v_lshlrev_b32_e32 v30, 24, v18
	s_delay_alu instid0(VALU_DEP_1) | instskip(NEXT) | instid1(VALU_DEP_1)
	v_and_b32_e32 v30, 0x80000000, v30
	v_lshl_add_u32 v16, v16, 23, v30
                                        ; implicit-def: $vgpr30
	s_delay_alu instid0(VALU_DEP_1) | instskip(NEXT) | instid1(VALU_DEP_1)
	v_lshl_or_b32 v16, v44, 21, v16
                                        ; implicit-def: $vgpr44
	v_add_nc_u32_e32 v16, 0x38000000, v16
.LBB2_409:                              ;   in Loop: Header=BB2_130 Depth=3
	s_and_not1_saveexec_b32 s25, s25
; %bb.410:                              ;   in Loop: Header=BB2_130 Depth=3
	v_cmp_lt_i16_e64 s9, -1, v30
	s_delay_alu instid0(VALU_DEP_1) | instskip(SKIP_1) | instid1(VALU_DEP_1)
	v_cndmask_b32_e64 v16, 0xff800000, v21, s9
	v_cmp_eq_u32_e64 s9, 0, v44
	v_cndmask_b32_e64 v16, 0x7f800001, v16, s9
; %bb.411:                              ;   in Loop: Header=BB2_130 Depth=3
	s_or_b32 exec_lo, exec_lo, s25
.LBB2_412:                              ;   in Loop: Header=BB2_130 Depth=3
	s_delay_alu instid0(SALU_CYCLE_1)
	s_or_b32 exec_lo, exec_lo, s24
.LBB2_413:                              ;   in Loop: Header=BB2_130 Depth=3
	s_delay_alu instid0(SALU_CYCLE_1) | instskip(NEXT) | instid1(SALU_CYCLE_1)
	s_or_b32 exec_lo, exec_lo, s23
	s_mov_b32 s23, exec_lo
	v_cmpx_ne_u16_e32 0, v2
	s_cbranch_execz .LBB2_423
; %bb.414:                              ;   in Loop: Header=BB2_130 Depth=3
	v_bfrev_b32_e32 v17, 1
	s_mov_b32 s24, exec_lo
	v_cmpx_ne_u16_e32 0xff80, v2
	s_cbranch_execz .LBB2_422
; %bb.415:                              ;   in Loop: Header=BB2_130 Depth=3
	v_and_b32_e32 v17, 0x7c, v4
	v_and_b32_e32 v30, 3, v4
	s_delay_alu instid0(VALU_DEP_2) | instskip(SKIP_1) | instid1(SALU_CYCLE_1)
	v_cmp_ne_u32_e64 s9, 0x7c, v17
                                        ; implicit-def: $vgpr17
	s_and_saveexec_b32 s25, s9
	s_xor_b32 s25, exec_lo, s25
	s_cbranch_execz .LBB2_419
; %bb.416:                              ;   in Loop: Header=BB2_130 Depth=3
	v_bfe_u32 v2, v4, 2, 5
	s_mov_b32 s26, exec_lo
	s_delay_alu instid0(VALU_DEP_1)
	v_cmpx_eq_u32_e32 0, v2
; %bb.417:                              ;   in Loop: Header=BB2_130 Depth=3
	v_clz_i32_u32_e32 v2, v30
	s_delay_alu instid0(VALU_DEP_1) | instskip(NEXT) | instid1(VALU_DEP_1)
	v_min_u32_e32 v2, 32, v2
	v_subrev_nc_u32_e32 v17, 29, v2
	s_delay_alu instid0(VALU_DEP_1) | instskip(NEXT) | instid1(VALU_DEP_1)
	v_lshlrev_b64_e32 v[44:45], v17, v[4:5]
	v_dual_sub_nc_u32 v2, 30, v2 :: v_dual_bitop2_b32 v30, 3, v44 bitop3:0x40
; %bb.418:                              ;   in Loop: Header=BB2_130 Depth=3
	s_or_b32 exec_lo, exec_lo, s26
	v_lshlrev_b32_e32 v17, 24, v4
	s_delay_alu instid0(VALU_DEP_1) | instskip(NEXT) | instid1(VALU_DEP_1)
	v_and_b32_e32 v17, 0x80000000, v17
	v_lshl_add_u32 v2, v2, 23, v17
	s_delay_alu instid0(VALU_DEP_1) | instskip(NEXT) | instid1(VALU_DEP_1)
	v_lshl_or_b32 v2, v30, 21, v2
                                        ; implicit-def: $vgpr30
	v_add_nc_u32_e32 v17, 0x38000000, v2
                                        ; implicit-def: $vgpr2
.LBB2_419:                              ;   in Loop: Header=BB2_130 Depth=3
	s_and_not1_saveexec_b32 s25, s25
; %bb.420:                              ;   in Loop: Header=BB2_130 Depth=3
	v_cmp_lt_i16_e64 s9, -1, v2
	s_delay_alu instid0(VALU_DEP_1) | instskip(SKIP_1) | instid1(VALU_DEP_1)
	v_cndmask_b32_e64 v2, 0xff800000, v21, s9
	v_cmp_eq_u32_e64 s9, 0, v30
	v_cndmask_b32_e64 v17, 0x7f800001, v2, s9
; %bb.421:                              ;   in Loop: Header=BB2_130 Depth=3
	s_or_b32 exec_lo, exec_lo, s25
.LBB2_422:                              ;   in Loop: Header=BB2_130 Depth=3
	s_delay_alu instid0(SALU_CYCLE_1)
	s_or_b32 exec_lo, exec_lo, s24
.LBB2_423:                              ;   in Loop: Header=BB2_130 Depth=3
	s_delay_alu instid0(SALU_CYCLE_1) | instskip(NEXT) | instid1(VALU_DEP_1)
	s_or_b32 exec_lo, exec_lo, s23
	v_dual_max_num_f32 v2, v17, v17 :: v_dual_max_num_f32 v16, v16, v16
                                        ; implicit-def: $vgpr30
	s_delay_alu instid0(VALU_DEP_1)
	v_max_num_f32_e32 v44, v16, v2
                                        ; implicit-def: $vgpr2
.LBB2_424:                              ;   in Loop: Header=BB2_130 Depth=3
	s_and_not1_saveexec_b32 s9, s22
	s_cbranch_execz .LBB2_446
; %bb.425:                              ;   in Loop: Header=BB2_130 Depth=3
	v_dual_mov_b32 v17, 0 :: v_dual_mov_b32 v16, 0
	s_and_saveexec_b32 s22, vcc_lo
	s_cbranch_execz .LBB2_435
; %bb.426:                              ;   in Loop: Header=BB2_130 Depth=3
	v_bfrev_b32_e32 v16, 1
	s_mov_b32 s23, exec_lo
	v_cmpx_ne_u16_e32 0xff80, v30
	s_cbranch_execz .LBB2_434
; %bb.427:                              ;   in Loop: Header=BB2_130 Depth=3
	v_and_b32_e32 v16, 0x7c, v18
	v_and_b32_e32 v44, 3, v18
	s_delay_alu instid0(VALU_DEP_2) | instskip(SKIP_1) | instid1(SALU_CYCLE_1)
	v_cmp_ne_u32_e32 vcc_lo, 0x7c, v16
                                        ; implicit-def: $vgpr16
	s_and_saveexec_b32 s24, vcc_lo
	s_xor_b32 s24, exec_lo, s24
	s_cbranch_execz .LBB2_431
; %bb.428:                              ;   in Loop: Header=BB2_130 Depth=3
	v_bfe_u32 v16, v18, 2, 5
	s_mov_b32 s25, exec_lo
	s_delay_alu instid0(VALU_DEP_1)
	v_cmpx_eq_u32_e32 0, v16
; %bb.429:                              ;   in Loop: Header=BB2_130 Depth=3
	v_clz_i32_u32_e32 v16, v44
	s_delay_alu instid0(VALU_DEP_1) | instskip(NEXT) | instid1(VALU_DEP_1)
	v_min_u32_e32 v16, 32, v16
	v_subrev_nc_u32_e32 v30, 29, v16
	v_sub_nc_u32_e32 v16, 30, v16
	s_delay_alu instid0(VALU_DEP_2) | instskip(NEXT) | instid1(VALU_DEP_1)
	v_lshlrev_b64_e32 v[44:45], v30, v[18:19]
	v_and_b32_e32 v44, 3, v44
; %bb.430:                              ;   in Loop: Header=BB2_130 Depth=3
	s_or_b32 exec_lo, exec_lo, s25
	v_lshlrev_b32_e32 v19, 24, v18
                                        ; implicit-def: $vgpr30
	s_delay_alu instid0(VALU_DEP_1) | instskip(NEXT) | instid1(VALU_DEP_1)
	v_and_b32_e32 v19, 0x80000000, v19
	v_lshl_add_u32 v16, v16, 23, v19
	s_delay_alu instid0(VALU_DEP_1) | instskip(NEXT) | instid1(VALU_DEP_1)
	v_lshl_or_b32 v16, v44, 21, v16
                                        ; implicit-def: $vgpr44
	v_add_nc_u32_e32 v16, 0x38000000, v16
.LBB2_431:                              ;   in Loop: Header=BB2_130 Depth=3
	s_and_not1_saveexec_b32 s24, s24
; %bb.432:                              ;   in Loop: Header=BB2_130 Depth=3
	v_cmp_lt_i16_e32 vcc_lo, -1, v30
	v_cndmask_b32_e32 v16, 0xff800000, v21, vcc_lo
	v_cmp_eq_u32_e32 vcc_lo, 0, v44
	s_delay_alu instid0(VALU_DEP_2)
	v_cndmask_b32_e32 v16, 0x7f800001, v16, vcc_lo
; %bb.433:                              ;   in Loop: Header=BB2_130 Depth=3
	s_or_b32 exec_lo, exec_lo, s24
.LBB2_434:                              ;   in Loop: Header=BB2_130 Depth=3
	s_delay_alu instid0(SALU_CYCLE_1)
	s_or_b32 exec_lo, exec_lo, s23
.LBB2_435:                              ;   in Loop: Header=BB2_130 Depth=3
	s_delay_alu instid0(SALU_CYCLE_1) | instskip(NEXT) | instid1(SALU_CYCLE_1)
	s_or_b32 exec_lo, exec_lo, s22
	s_mov_b32 s22, exec_lo
	v_cmpx_ne_u16_e32 0, v2
	s_cbranch_execz .LBB2_445
; %bb.436:                              ;   in Loop: Header=BB2_130 Depth=3
	v_bfrev_b32_e32 v17, 1
	s_mov_b32 s23, exec_lo
	v_cmpx_ne_u16_e32 0xff80, v2
	s_cbranch_execz .LBB2_444
; %bb.437:                              ;   in Loop: Header=BB2_130 Depth=3
	v_and_b32_e32 v17, 0x7c, v4
	v_and_b32_e32 v19, 3, v4
	s_delay_alu instid0(VALU_DEP_2) | instskip(SKIP_1) | instid1(SALU_CYCLE_1)
	v_cmp_ne_u32_e32 vcc_lo, 0x7c, v17
                                        ; implicit-def: $vgpr17
	s_and_saveexec_b32 s24, vcc_lo
	s_xor_b32 s24, exec_lo, s24
	s_cbranch_execz .LBB2_441
; %bb.438:                              ;   in Loop: Header=BB2_130 Depth=3
	v_bfe_u32 v2, v4, 2, 5
	s_mov_b32 s25, exec_lo
	s_delay_alu instid0(VALU_DEP_1)
	v_cmpx_eq_u32_e32 0, v2
; %bb.439:                              ;   in Loop: Header=BB2_130 Depth=3
	v_clz_i32_u32_e32 v2, v19
	s_delay_alu instid0(VALU_DEP_1) | instskip(NEXT) | instid1(VALU_DEP_1)
	v_min_u32_e32 v2, 32, v2
	v_subrev_nc_u32_e32 v17, 29, v2
	s_delay_alu instid0(VALU_DEP_1) | instskip(NEXT) | instid1(VALU_DEP_1)
	v_lshlrev_b64_e32 v[44:45], v17, v[4:5]
	v_dual_sub_nc_u32 v2, 30, v2 :: v_dual_bitop2_b32 v19, 3, v44 bitop3:0x40
; %bb.440:                              ;   in Loop: Header=BB2_130 Depth=3
	s_or_b32 exec_lo, exec_lo, s25
	v_lshlrev_b32_e32 v5, 24, v4
	s_delay_alu instid0(VALU_DEP_1) | instskip(NEXT) | instid1(VALU_DEP_1)
	v_and_b32_e32 v5, 0x80000000, v5
	v_lshl_add_u32 v2, v2, 23, v5
	s_delay_alu instid0(VALU_DEP_1) | instskip(NEXT) | instid1(VALU_DEP_1)
	v_lshl_or_b32 v2, v19, 21, v2
                                        ; implicit-def: $vgpr19
	v_add_nc_u32_e32 v17, 0x38000000, v2
                                        ; implicit-def: $vgpr2
.LBB2_441:                              ;   in Loop: Header=BB2_130 Depth=3
	s_and_not1_saveexec_b32 s24, s24
; %bb.442:                              ;   in Loop: Header=BB2_130 Depth=3
	v_cmp_lt_i16_e32 vcc_lo, -1, v2
	v_cndmask_b32_e32 v2, 0xff800000, v21, vcc_lo
	v_cmp_eq_u32_e32 vcc_lo, 0, v19
	s_delay_alu instid0(VALU_DEP_2)
	v_cndmask_b32_e32 v17, 0x7f800001, v2, vcc_lo
; %bb.443:                              ;   in Loop: Header=BB2_130 Depth=3
	s_or_b32 exec_lo, exec_lo, s24
.LBB2_444:                              ;   in Loop: Header=BB2_130 Depth=3
	s_delay_alu instid0(SALU_CYCLE_1)
	s_or_b32 exec_lo, exec_lo, s23
.LBB2_445:                              ;   in Loop: Header=BB2_130 Depth=3
	s_delay_alu instid0(SALU_CYCLE_1) | instskip(NEXT) | instid1(VALU_DEP_1)
	s_or_b32 exec_lo, exec_lo, s22
	v_dual_max_num_f32 v2, v17, v17 :: v_dual_max_num_f32 v5, v16, v16
	s_delay_alu instid0(VALU_DEP_1)
	v_min_num_f32_e32 v44, v5, v2
.LBB2_446:                              ;   in Loop: Header=BB2_130 Depth=3
	s_or_b32 exec_lo, exec_lo, s9
	s_delay_alu instid0(VALU_DEP_1) | instskip(SKIP_4) | instid1(VALU_DEP_3)
	v_and_b32_e32 v76, 0x7f800000, v44
	v_dual_mov_b32 v77, v55 :: v_dual_mov_b32 v17, v55
	v_and_b32_e32 v16, 0x7fffff, v44
	v_lshrrev_b32_e32 v2, 24, v44
                                        ; implicit-def: $vgpr75
	s_mov_b32 s9, exec_lo
	v_cmpx_ne_u64_e32 0x7f800000, v[76:77]
	s_xor_b32 s22, exec_lo, s9
	s_cbranch_execz .LBB2_460
; %bb.447:                              ;   in Loop: Header=BB2_130 Depth=3
	v_and_b32_e32 v76, 0x7fffffff, v44
	v_mov_b32_e32 v77, v55
	v_and_b32_e32 v2, 0x80, v2
                                        ; implicit-def: $vgpr75
	s_mov_b32 s9, exec_lo
	s_delay_alu instid0(VALU_DEP_2)
	v_cmpx_gt_u64_e32 0x47600001, v[76:77]
	s_xor_b32 s23, exec_lo, s9
	s_cbranch_execz .LBB2_457
; %bb.448:                              ;   in Loop: Header=BB2_130 Depth=3
	v_mov_b32_e32 v75, 0
	s_mov_b32 s24, exec_lo
	v_cmpx_ne_u32_e32 0, v44
	s_cbranch_execz .LBB2_456
; %bb.449:                              ;   in Loop: Header=BB2_130 Depth=3
	v_bfe_u32 v5, v44, 23, 8
	v_or_b32_e32 v75, 0x800000, v16
	s_delay_alu instid0(VALU_DEP_2) | instskip(SKIP_1) | instid1(VALU_DEP_2)
	v_sub_nc_u32_e32 v19, 0x71, v5
	v_cmp_gt_u32_e32 vcc_lo, 0x72, v5
	v_cndmask_b32_e32 v19, 0, v19, vcc_lo
	v_cmp_eq_u32_e32 vcc_lo, 0, v5
	s_delay_alu instid0(VALU_DEP_2) | instskip(NEXT) | instid1(VALU_DEP_1)
	v_cndmask_b32_e64 v19, v19, 0x70, vcc_lo
	v_dual_cndmask_b32 v16, v75, v16, vcc_lo :: v_dual_add_nc_u32 v30, 21, v19
	s_delay_alu instid0(VALU_DEP_1) | instskip(SKIP_1) | instid1(VALU_DEP_1)
	v_lshlrev_b64_e64 v[44:45], v30, -1
	v_add_nc_u32_e32 v30, 20, v19
	v_lshlrev_b64_e64 v[76:77], v30, 1
	s_delay_alu instid0(VALU_DEP_3) | instskip(SKIP_2) | instid1(VALU_DEP_1)
	v_bfi_b32 v44, v44, 0, v16
	v_lshrrev_b64 v[16:17], v19, v[16:17]
	v_bfi_b32 v45, v45, 0, 0
	v_cmp_eq_u64_e64 s9, v[44:45], v[76:77]
	s_delay_alu instid0(VALU_DEP_3)
	v_mov_b64_e32 v[44:45], v[16:17]
	s_and_saveexec_b32 s25, s9
; %bb.450:                              ;   in Loop: Header=BB2_130 Depth=3
	v_bfe_u32 v44, v16, 21, 1
	v_mov_b32_e32 v45, v55
	s_delay_alu instid0(VALU_DEP_1) | instskip(NEXT) | instid1(VALU_DEP_1)
	v_add_nc_u64_e32 v[44:45], v[16:17], v[44:45]
	v_add_nc_u64_e32 v[44:45], -1, v[44:45]
; %bb.451:                              ;   in Loop: Header=BB2_130 Depth=3
	s_or_b32 exec_lo, exec_lo, s25
	v_add_nc_u32_e32 v5, 0xffffff81, v5
	v_lshrrev_b32_e32 v17, 23, v16
	s_mov_b32 s9, exec_lo
	s_delay_alu instid0(VALU_DEP_2) | instskip(NEXT) | instid1(VALU_DEP_1)
	v_cndmask_b32_e64 v5, v5, 0xffffff82, vcc_lo
	v_add3_u32 v19, v19, v5, v17
	v_and_b32_e32 v5, 0x1fffff, v44
	s_delay_alu instid0(VALU_DEP_2) | instskip(NEXT) | instid1(VALU_DEP_2)
	v_dual_mov_b32 v17, v55 :: v_dual_add_nc_u32 v30, 14, v19
	v_add_nc_u32_e32 v16, v5, v16
                                        ; implicit-def: $vgpr5
	s_delay_alu instid0(VALU_DEP_2)
	v_cmpx_ne_u32_e32 0, v30
	s_xor_b32 s9, exec_lo, s9
; %bb.452:                              ;   in Loop: Header=BB2_130 Depth=3
	s_delay_alu instid0(VALU_DEP_2) | instskip(SKIP_2) | instid1(VALU_DEP_2)
	v_cmp_lt_u64_e32 vcc_lo, 0xffffff, v[16:17]
	v_add_nc_u32_e32 v5, 15, v19
	v_cndmask_b32_e64 v19, 0, 1, vcc_lo
	v_cndmask_b32_e32 v5, v30, v5, vcc_lo
	s_delay_alu instid0(VALU_DEP_2)
	v_lshrrev_b64 v[16:17], v19, v[16:17]
; %bb.453:                              ;   in Loop: Header=BB2_130 Depth=3
	s_and_not1_saveexec_b32 s9, s9
; %bb.454:                              ;   in Loop: Header=BB2_130 Depth=3
	s_delay_alu instid0(VALU_DEP_1)
	v_bfe_u32 v5, v16, 23, 1
; %bb.455:                              ;   in Loop: Header=BB2_130 Depth=3
	s_or_b32 exec_lo, exec_lo, s9
	s_delay_alu instid0(VALU_DEP_2) | instskip(NEXT) | instid1(VALU_DEP_2)
	v_lshrrev_b64 v[16:17], 21, v[16:17]
	v_cmp_gt_i32_e32 vcc_lo, 32, v5
	v_min_i32_e32 v19, 31, v5
	v_cmp_eq_u32_e64 s9, 0, v5
	s_delay_alu instid0(VALU_DEP_2) | instskip(SKIP_1) | instid1(VALU_DEP_2)
	v_dual_cndmask_b32 v16, 3, v16 :: v_dual_lshlrev_b32 v19, 2, v19
	v_cndmask_b32_e32 v17, 0, v17, vcc_lo
	v_and_b32_e32 v19, 0xfc, v19
	s_delay_alu instid0(VALU_DEP_2) | instskip(NEXT) | instid1(VALU_DEP_2)
	v_cmp_eq_u64_e32 vcc_lo, 0, v[16:17]
	v_and_or_b32 v5, v16, 3, v19
	s_and_b32 s9, s9, vcc_lo
	s_delay_alu instid0(VALU_DEP_1) | instid1(SALU_CYCLE_1)
	v_cndmask_b32_e64 v5, v5, 0, s9
	s_delay_alu instid0(VALU_DEP_1)
	v_or_b32_e32 v75, v5, v2
.LBB2_456:                              ;   in Loop: Header=BB2_130 Depth=3
	s_or_b32 exec_lo, exec_lo, s24
                                        ; implicit-def: $vgpr2
.LBB2_457:                              ;   in Loop: Header=BB2_130 Depth=3
	s_and_not1_saveexec_b32 s9, s23
; %bb.458:                              ;   in Loop: Header=BB2_130 Depth=3
	v_or_b32_e32 v75, 0x7b, v2
; %bb.459:                              ;   in Loop: Header=BB2_130 Depth=3
	s_or_b32 exec_lo, exec_lo, s9
                                        ; implicit-def: $vgpr44
                                        ; implicit-def: $vgpr16_vgpr17
                                        ; implicit-def: $vgpr2
.LBB2_460:                              ;   in Loop: Header=BB2_130 Depth=3
	s_and_not1_saveexec_b32 s9, s22
	s_cbranch_execz .LBB2_466
; %bb.461:                              ;   in Loop: Header=BB2_130 Depth=3
	s_mov_b32 s22, exec_lo
                                        ; implicit-def: $vgpr75
	v_cmpx_ne_u64_e32 0, v[16:17]
	s_xor_b32 s22, exec_lo, s22
; %bb.462:                              ;   in Loop: Header=BB2_130 Depth=3
	v_or_b32_e32 v75, 0x7f, v2
                                        ; implicit-def: $vgpr44
; %bb.463:                              ;   in Loop: Header=BB2_130 Depth=3
	s_and_not1_saveexec_b32 s22, s22
; %bb.464:                              ;   in Loop: Header=BB2_130 Depth=3
	v_cmp_lt_i32_e32 vcc_lo, -1, v44
	v_cndmask_b32_e32 v75, 0xfc, v58, vcc_lo
; %bb.465:                              ;   in Loop: Header=BB2_130 Depth=3
	s_or_b32 exec_lo, exec_lo, s22
.LBB2_466:                              ;   in Loop: Header=BB2_130 Depth=3
	s_delay_alu instid0(SALU_CYCLE_1) | instskip(SKIP_2) | instid1(VALU_DEP_2)
	s_or_b32 exec_lo, exec_lo, s9
	v_lshrrev_b16 v44, 8, v18
	v_lshrrev_b16 v16, 8, v4
                                        ; implicit-def: $vgpr5
	v_and_b32_e32 v17, 0xffff, v44
	v_cmp_ne_u16_e32 vcc_lo, 0, v44
	s_and_saveexec_b32 s9, s6
	s_delay_alu instid0(SALU_CYCLE_1)
	s_xor_b32 s22, exec_lo, s9
	s_cbranch_execz .LBB2_488
; %bb.467:                              ;   in Loop: Header=BB2_130 Depth=3
	v_dual_mov_b32 v5, 0 :: v_dual_mov_b32 v2, 0
	s_and_saveexec_b32 s23, vcc_lo
	s_cbranch_execz .LBB2_477
; %bb.468:                              ;   in Loop: Header=BB2_130 Depth=3
	v_bfrev_b32_e32 v2, 1
	s_mov_b32 s24, exec_lo
	v_cmpx_ne_u16_e32 0x80, v44
	s_cbranch_execz .LBB2_476
; %bb.469:                              ;   in Loop: Header=BB2_130 Depth=3
	v_and_b32_e32 v2, 0x7c, v17
	v_and_b32_e32 v19, 3, v17
	s_delay_alu instid0(VALU_DEP_2) | instskip(SKIP_1) | instid1(SALU_CYCLE_1)
	v_cmp_ne_u32_e64 s9, 0x7c, v2
                                        ; implicit-def: $vgpr2
	s_and_saveexec_b32 s25, s9
	s_xor_b32 s25, exec_lo, s25
	s_cbranch_execz .LBB2_473
; %bb.470:                              ;   in Loop: Header=BB2_130 Depth=3
	v_bfe_u32 v2, v17, 2, 5
	s_mov_b32 s26, exec_lo
	s_delay_alu instid0(VALU_DEP_1)
	v_cmpx_eq_u32_e32 0, v2
	s_cbranch_execz .LBB2_472
; %bb.471:                              ;   in Loop: Header=BB2_130 Depth=3
	v_clz_i32_u32_e32 v2, v19
	s_delay_alu instid0(VALU_DEP_1) | instskip(SKIP_1) | instid1(VALU_DEP_2)
	v_min_u32_e32 v2, 32, v2
	v_mov_b32_e32 v45, v55
	v_subrev_nc_u32_e32 v17, 29, v2
	v_sub_nc_u32_e32 v2, 30, v2
	s_delay_alu instid0(VALU_DEP_2) | instskip(NEXT) | instid1(VALU_DEP_1)
	v_lshlrev_b64_e32 v[44:45], v17, v[44:45]
	v_and_b32_e32 v19, 3, v44
.LBB2_472:                              ;   in Loop: Header=BB2_130 Depth=3
	s_or_b32 exec_lo, exec_lo, s26
	v_lshlrev_b32_e32 v17, 16, v18
	s_delay_alu instid0(VALU_DEP_1) | instskip(NEXT) | instid1(VALU_DEP_1)
	v_and_b32_e32 v17, 0x80000000, v17
	v_lshl_add_u32 v2, v2, 23, v17
	s_delay_alu instid0(VALU_DEP_1) | instskip(NEXT) | instid1(VALU_DEP_1)
	v_lshl_or_b32 v2, v19, 21, v2
                                        ; implicit-def: $vgpr19
	v_add_nc_u32_e32 v2, 0x38000000, v2
.LBB2_473:                              ;   in Loop: Header=BB2_130 Depth=3
	s_and_not1_saveexec_b32 s25, s25
; %bb.474:                              ;   in Loop: Header=BB2_130 Depth=3
	v_cmp_lt_i16_e64 s9, -1, v18
	s_delay_alu instid0(VALU_DEP_1) | instskip(SKIP_1) | instid1(VALU_DEP_1)
	v_cndmask_b32_e64 v2, 0xff800000, v21, s9
	v_cmp_eq_u32_e64 s9, 0, v19
	v_cndmask_b32_e64 v2, 0x7f800001, v2, s9
; %bb.475:                              ;   in Loop: Header=BB2_130 Depth=3
	s_or_b32 exec_lo, exec_lo, s25
.LBB2_476:                              ;   in Loop: Header=BB2_130 Depth=3
	s_delay_alu instid0(SALU_CYCLE_1)
	s_or_b32 exec_lo, exec_lo, s24
.LBB2_477:                              ;   in Loop: Header=BB2_130 Depth=3
	s_delay_alu instid0(SALU_CYCLE_1) | instskip(NEXT) | instid1(SALU_CYCLE_1)
	s_or_b32 exec_lo, exec_lo, s23
	s_mov_b32 s23, exec_lo
	v_cmpx_ne_u16_e32 0, v16
	s_cbranch_execz .LBB2_487
; %bb.478:                              ;   in Loop: Header=BB2_130 Depth=3
	v_bfrev_b32_e32 v5, 1
	s_mov_b32 s24, exec_lo
	v_cmpx_ne_u16_e32 0x80, v16
	s_cbranch_execz .LBB2_486
; %bb.479:                              ;   in Loop: Header=BB2_130 Depth=3
	v_and_b32_e32 v19, 0xffff, v16
	s_delay_alu instid0(VALU_DEP_1) | instskip(SKIP_1) | instid1(VALU_DEP_2)
	v_and_b32_e32 v5, 0x7c, v19
	v_and_b32_e32 v17, 3, v19
	v_cmp_ne_u32_e64 s9, 0x7c, v5
                                        ; implicit-def: $vgpr5
	s_and_saveexec_b32 s25, s9
	s_delay_alu instid0(SALU_CYCLE_1)
	s_xor_b32 s25, exec_lo, s25
	s_cbranch_execz .LBB2_483
; %bb.480:                              ;   in Loop: Header=BB2_130 Depth=3
	v_bfe_u32 v5, v19, 2, 5
	s_mov_b32 s26, exec_lo
	s_delay_alu instid0(VALU_DEP_1)
	v_cmpx_eq_u32_e32 0, v5
	s_cbranch_execz .LBB2_482
; %bb.481:                              ;   in Loop: Header=BB2_130 Depth=3
	v_clz_i32_u32_e32 v5, v17
	s_delay_alu instid0(VALU_DEP_1) | instskip(SKIP_1) | instid1(VALU_DEP_2)
	v_min_u32_e32 v5, 32, v5
	v_mov_b32_e32 v17, v55
	v_subrev_nc_u32_e32 v19, 29, v5
	v_sub_nc_u32_e32 v5, 30, v5
	s_delay_alu instid0(VALU_DEP_2) | instskip(NEXT) | instid1(VALU_DEP_1)
	v_lshlrev_b64_e32 v[16:17], v19, v[16:17]
	v_and_b32_e32 v17, 3, v16
.LBB2_482:                              ;   in Loop: Header=BB2_130 Depth=3
	s_or_b32 exec_lo, exec_lo, s26
	v_lshlrev_b32_e32 v16, 16, v4
	s_delay_alu instid0(VALU_DEP_1) | instskip(NEXT) | instid1(VALU_DEP_1)
	v_and_b32_e32 v16, 0x80000000, v16
	v_lshl_add_u32 v5, v5, 23, v16
	s_delay_alu instid0(VALU_DEP_1) | instskip(NEXT) | instid1(VALU_DEP_1)
	v_lshl_or_b32 v5, v17, 21, v5
                                        ; implicit-def: $vgpr17
	v_add_nc_u32_e32 v5, 0x38000000, v5
.LBB2_483:                              ;   in Loop: Header=BB2_130 Depth=3
	s_and_not1_saveexec_b32 s25, s25
; %bb.484:                              ;   in Loop: Header=BB2_130 Depth=3
	v_cmp_lt_i16_e64 s9, -1, v4
	s_delay_alu instid0(VALU_DEP_1) | instskip(SKIP_1) | instid1(VALU_DEP_1)
	v_cndmask_b32_e64 v5, 0xff800000, v21, s9
	v_cmp_eq_u32_e64 s9, 0, v17
	v_cndmask_b32_e64 v5, 0x7f800001, v5, s9
; %bb.485:                              ;   in Loop: Header=BB2_130 Depth=3
	s_or_b32 exec_lo, exec_lo, s25
.LBB2_486:                              ;   in Loop: Header=BB2_130 Depth=3
	s_delay_alu instid0(SALU_CYCLE_1)
	s_or_b32 exec_lo, exec_lo, s24
.LBB2_487:                              ;   in Loop: Header=BB2_130 Depth=3
	s_delay_alu instid0(SALU_CYCLE_1) | instskip(NEXT) | instid1(VALU_DEP_1)
	s_or_b32 exec_lo, exec_lo, s23
	v_dual_max_num_f32 v5, v5, v5 :: v_dual_max_num_f32 v2, v2, v2
                                        ; implicit-def: $vgpr16
                                        ; implicit-def: $vgpr44
                                        ; implicit-def: $vgpr17
	s_delay_alu instid0(VALU_DEP_1)
	v_max_num_f32_e32 v5, v2, v5
.LBB2_488:                              ;   in Loop: Header=BB2_130 Depth=3
	s_and_not1_saveexec_b32 s9, s22
	s_cbranch_execz .LBB2_510
; %bb.489:                              ;   in Loop: Header=BB2_130 Depth=3
	v_dual_mov_b32 v5, 0 :: v_dual_mov_b32 v2, 0
	s_and_saveexec_b32 s22, vcc_lo
	s_cbranch_execz .LBB2_499
; %bb.490:                              ;   in Loop: Header=BB2_130 Depth=3
	v_bfrev_b32_e32 v2, 1
	s_mov_b32 s23, exec_lo
	v_cmpx_ne_u16_e32 0x80, v44
	s_cbranch_execz .LBB2_498
; %bb.491:                              ;   in Loop: Header=BB2_130 Depth=3
	v_and_b32_e32 v2, 0x7c, v17
	v_and_b32_e32 v19, 3, v17
	s_delay_alu instid0(VALU_DEP_2) | instskip(SKIP_1) | instid1(SALU_CYCLE_1)
	v_cmp_ne_u32_e32 vcc_lo, 0x7c, v2
                                        ; implicit-def: $vgpr2
	s_and_saveexec_b32 s24, vcc_lo
	s_xor_b32 s24, exec_lo, s24
	s_cbranch_execz .LBB2_495
; %bb.492:                              ;   in Loop: Header=BB2_130 Depth=3
	v_bfe_u32 v2, v17, 2, 5
	s_mov_b32 s25, exec_lo
	s_delay_alu instid0(VALU_DEP_1)
	v_cmpx_eq_u32_e32 0, v2
	s_cbranch_execz .LBB2_494
; %bb.493:                              ;   in Loop: Header=BB2_130 Depth=3
	v_clz_i32_u32_e32 v2, v19
	s_delay_alu instid0(VALU_DEP_1) | instskip(SKIP_1) | instid1(VALU_DEP_2)
	v_min_u32_e32 v2, 32, v2
	v_mov_b32_e32 v45, v55
	v_subrev_nc_u32_e32 v17, 29, v2
	v_sub_nc_u32_e32 v2, 30, v2
	s_delay_alu instid0(VALU_DEP_2) | instskip(NEXT) | instid1(VALU_DEP_1)
	v_lshlrev_b64_e32 v[44:45], v17, v[44:45]
	v_and_b32_e32 v19, 3, v44
.LBB2_494:                              ;   in Loop: Header=BB2_130 Depth=3
	s_or_b32 exec_lo, exec_lo, s25
	v_lshlrev_b32_e32 v17, 16, v18
	s_delay_alu instid0(VALU_DEP_1) | instskip(NEXT) | instid1(VALU_DEP_1)
	v_and_b32_e32 v17, 0x80000000, v17
	v_lshl_add_u32 v2, v2, 23, v17
	s_delay_alu instid0(VALU_DEP_1) | instskip(NEXT) | instid1(VALU_DEP_1)
	v_lshl_or_b32 v2, v19, 21, v2
                                        ; implicit-def: $vgpr19
	v_add_nc_u32_e32 v2, 0x38000000, v2
.LBB2_495:                              ;   in Loop: Header=BB2_130 Depth=3
	s_and_not1_saveexec_b32 s24, s24
; %bb.496:                              ;   in Loop: Header=BB2_130 Depth=3
	v_cmp_lt_i16_e32 vcc_lo, -1, v18
	v_cndmask_b32_e32 v2, 0xff800000, v21, vcc_lo
	v_cmp_eq_u32_e32 vcc_lo, 0, v19
	s_delay_alu instid0(VALU_DEP_2)
	v_cndmask_b32_e32 v2, 0x7f800001, v2, vcc_lo
; %bb.497:                              ;   in Loop: Header=BB2_130 Depth=3
	s_or_b32 exec_lo, exec_lo, s24
.LBB2_498:                              ;   in Loop: Header=BB2_130 Depth=3
	s_delay_alu instid0(SALU_CYCLE_1)
	s_or_b32 exec_lo, exec_lo, s23
.LBB2_499:                              ;   in Loop: Header=BB2_130 Depth=3
	s_delay_alu instid0(SALU_CYCLE_1) | instskip(NEXT) | instid1(SALU_CYCLE_1)
	s_or_b32 exec_lo, exec_lo, s22
	s_mov_b32 s22, exec_lo
	v_cmpx_ne_u16_e32 0, v16
	s_cbranch_execz .LBB2_509
; %bb.500:                              ;   in Loop: Header=BB2_130 Depth=3
	v_bfrev_b32_e32 v5, 1
	s_mov_b32 s23, exec_lo
	v_cmpx_ne_u16_e32 0x80, v16
	s_cbranch_execz .LBB2_508
; %bb.501:                              ;   in Loop: Header=BB2_130 Depth=3
	v_and_b32_e32 v19, 0xffff, v16
	s_delay_alu instid0(VALU_DEP_1) | instskip(SKIP_1) | instid1(VALU_DEP_2)
	v_and_b32_e32 v5, 0x7c, v19
	v_and_b32_e32 v17, 3, v19
	v_cmp_ne_u32_e32 vcc_lo, 0x7c, v5
                                        ; implicit-def: $vgpr5
	s_and_saveexec_b32 s24, vcc_lo
	s_delay_alu instid0(SALU_CYCLE_1)
	s_xor_b32 s24, exec_lo, s24
	s_cbranch_execz .LBB2_505
; %bb.502:                              ;   in Loop: Header=BB2_130 Depth=3
	v_bfe_u32 v5, v19, 2, 5
	s_mov_b32 s25, exec_lo
	s_delay_alu instid0(VALU_DEP_1)
	v_cmpx_eq_u32_e32 0, v5
	s_cbranch_execz .LBB2_504
; %bb.503:                              ;   in Loop: Header=BB2_130 Depth=3
	v_clz_i32_u32_e32 v5, v17
	s_delay_alu instid0(VALU_DEP_1) | instskip(SKIP_1) | instid1(VALU_DEP_2)
	v_min_u32_e32 v5, 32, v5
	v_mov_b32_e32 v17, v55
	v_subrev_nc_u32_e32 v19, 29, v5
	v_sub_nc_u32_e32 v5, 30, v5
	s_delay_alu instid0(VALU_DEP_2) | instskip(NEXT) | instid1(VALU_DEP_1)
	v_lshlrev_b64_e32 v[16:17], v19, v[16:17]
	v_and_b32_e32 v17, 3, v16
.LBB2_504:                              ;   in Loop: Header=BB2_130 Depth=3
	s_or_b32 exec_lo, exec_lo, s25
	v_lshlrev_b32_e32 v16, 16, v4
	s_delay_alu instid0(VALU_DEP_1) | instskip(NEXT) | instid1(VALU_DEP_1)
	v_and_b32_e32 v16, 0x80000000, v16
	v_lshl_add_u32 v5, v5, 23, v16
	s_delay_alu instid0(VALU_DEP_1) | instskip(NEXT) | instid1(VALU_DEP_1)
	v_lshl_or_b32 v5, v17, 21, v5
                                        ; implicit-def: $vgpr17
	v_add_nc_u32_e32 v5, 0x38000000, v5
.LBB2_505:                              ;   in Loop: Header=BB2_130 Depth=3
	s_and_not1_saveexec_b32 s24, s24
; %bb.506:                              ;   in Loop: Header=BB2_130 Depth=3
	v_cmp_lt_i16_e32 vcc_lo, -1, v4
	v_cndmask_b32_e32 v5, 0xff800000, v21, vcc_lo
	v_cmp_eq_u32_e32 vcc_lo, 0, v17
	s_delay_alu instid0(VALU_DEP_2)
	v_cndmask_b32_e32 v5, 0x7f800001, v5, vcc_lo
; %bb.507:                              ;   in Loop: Header=BB2_130 Depth=3
	s_or_b32 exec_lo, exec_lo, s24
.LBB2_508:                              ;   in Loop: Header=BB2_130 Depth=3
	s_delay_alu instid0(SALU_CYCLE_1)
	s_or_b32 exec_lo, exec_lo, s23
.LBB2_509:                              ;   in Loop: Header=BB2_130 Depth=3
	s_delay_alu instid0(SALU_CYCLE_1) | instskip(NEXT) | instid1(VALU_DEP_1)
	s_or_b32 exec_lo, exec_lo, s22
	v_dual_max_num_f32 v5, v5, v5 :: v_dual_max_num_f32 v2, v2, v2
	s_delay_alu instid0(VALU_DEP_1)
	v_min_num_f32_e32 v5, v2, v5
.LBB2_510:                              ;   in Loop: Header=BB2_130 Depth=3
	s_or_b32 exec_lo, exec_lo, s9
	s_delay_alu instid0(VALU_DEP_1) | instskip(SKIP_4) | instid1(VALU_DEP_3)
	v_and_b32_e32 v44, 0x7f800000, v5
	v_dual_mov_b32 v45, v55 :: v_dual_mov_b32 v17, v55
	v_and_b32_e32 v16, 0x7fffff, v5
	v_lshrrev_b32_e32 v2, 24, v5
                                        ; implicit-def: $vgpr76
	s_mov_b32 s9, exec_lo
	v_cmpx_ne_u64_e32 0x7f800000, v[44:45]
	s_xor_b32 s22, exec_lo, s9
	s_cbranch_execz .LBB2_524
; %bb.511:                              ;   in Loop: Header=BB2_130 Depth=3
	v_and_b32_e32 v44, 0x7fffffff, v5
	v_mov_b32_e32 v45, v55
	v_and_b32_e32 v2, 0x80, v2
                                        ; implicit-def: $vgpr76
	s_mov_b32 s9, exec_lo
	s_delay_alu instid0(VALU_DEP_2)
	v_cmpx_gt_u64_e32 0x47600001, v[44:45]
	s_xor_b32 s23, exec_lo, s9
	s_cbranch_execz .LBB2_521
; %bb.512:                              ;   in Loop: Header=BB2_130 Depth=3
	v_mov_b32_e32 v76, 0
	s_mov_b32 s24, exec_lo
	v_cmpx_ne_u32_e32 0, v5
	s_cbranch_execz .LBB2_520
; %bb.513:                              ;   in Loop: Header=BB2_130 Depth=3
	v_bfe_u32 v5, v5, 23, 8
	v_or_b32_e32 v76, 0x800000, v16
	s_delay_alu instid0(VALU_DEP_2) | instskip(SKIP_1) | instid1(VALU_DEP_2)
	v_sub_nc_u32_e32 v19, 0x71, v5
	v_cmp_gt_u32_e32 vcc_lo, 0x72, v5
	v_cndmask_b32_e32 v19, 0, v19, vcc_lo
	v_cmp_eq_u32_e32 vcc_lo, 0, v5
	s_delay_alu instid0(VALU_DEP_2) | instskip(NEXT) | instid1(VALU_DEP_1)
	v_cndmask_b32_e64 v19, v19, 0x70, vcc_lo
	v_dual_cndmask_b32 v16, v76, v16, vcc_lo :: v_dual_add_nc_u32 v30, 21, v19
	s_delay_alu instid0(VALU_DEP_1) | instskip(SKIP_1) | instid1(VALU_DEP_1)
	v_lshlrev_b64_e64 v[44:45], v30, -1
	v_add_nc_u32_e32 v30, 20, v19
	v_lshlrev_b64_e64 v[76:77], v30, 1
	s_delay_alu instid0(VALU_DEP_3) | instskip(SKIP_2) | instid1(VALU_DEP_1)
	v_bfi_b32 v44, v44, 0, v16
	v_lshrrev_b64 v[16:17], v19, v[16:17]
	v_bfi_b32 v45, v45, 0, 0
	v_cmp_eq_u64_e64 s9, v[44:45], v[76:77]
	s_delay_alu instid0(VALU_DEP_3)
	v_mov_b64_e32 v[44:45], v[16:17]
	s_and_saveexec_b32 s25, s9
; %bb.514:                              ;   in Loop: Header=BB2_130 Depth=3
	v_bfe_u32 v44, v16, 21, 1
	v_mov_b32_e32 v45, v55
	s_delay_alu instid0(VALU_DEP_1) | instskip(NEXT) | instid1(VALU_DEP_1)
	v_add_nc_u64_e32 v[44:45], v[16:17], v[44:45]
	v_add_nc_u64_e32 v[44:45], -1, v[44:45]
; %bb.515:                              ;   in Loop: Header=BB2_130 Depth=3
	s_or_b32 exec_lo, exec_lo, s25
	v_add_nc_u32_e32 v5, 0xffffff81, v5
	v_lshrrev_b32_e32 v17, 23, v16
	s_mov_b32 s9, exec_lo
	s_delay_alu instid0(VALU_DEP_2) | instskip(NEXT) | instid1(VALU_DEP_1)
	v_cndmask_b32_e64 v5, v5, 0xffffff82, vcc_lo
	v_add3_u32 v19, v19, v5, v17
	v_and_b32_e32 v5, 0x1fffff, v44
	s_delay_alu instid0(VALU_DEP_2) | instskip(NEXT) | instid1(VALU_DEP_2)
	v_dual_mov_b32 v17, v55 :: v_dual_add_nc_u32 v30, 14, v19
	v_add_nc_u32_e32 v16, v5, v16
                                        ; implicit-def: $vgpr5
	s_delay_alu instid0(VALU_DEP_2)
	v_cmpx_ne_u32_e32 0, v30
	s_xor_b32 s9, exec_lo, s9
; %bb.516:                              ;   in Loop: Header=BB2_130 Depth=3
	s_delay_alu instid0(VALU_DEP_2) | instskip(SKIP_2) | instid1(VALU_DEP_2)
	v_cmp_lt_u64_e32 vcc_lo, 0xffffff, v[16:17]
	v_add_nc_u32_e32 v5, 15, v19
	v_cndmask_b32_e64 v19, 0, 1, vcc_lo
	v_cndmask_b32_e32 v5, v30, v5, vcc_lo
	s_delay_alu instid0(VALU_DEP_2)
	v_lshrrev_b64 v[16:17], v19, v[16:17]
; %bb.517:                              ;   in Loop: Header=BB2_130 Depth=3
	s_and_not1_saveexec_b32 s9, s9
; %bb.518:                              ;   in Loop: Header=BB2_130 Depth=3
	s_delay_alu instid0(VALU_DEP_1)
	v_bfe_u32 v5, v16, 23, 1
; %bb.519:                              ;   in Loop: Header=BB2_130 Depth=3
	s_or_b32 exec_lo, exec_lo, s9
	s_delay_alu instid0(VALU_DEP_2) | instskip(NEXT) | instid1(VALU_DEP_2)
	v_lshrrev_b64 v[16:17], 21, v[16:17]
	v_cmp_gt_i32_e32 vcc_lo, 32, v5
	v_min_i32_e32 v19, 31, v5
	v_cmp_eq_u32_e64 s9, 0, v5
	s_delay_alu instid0(VALU_DEP_2) | instskip(SKIP_1) | instid1(VALU_DEP_2)
	v_dual_cndmask_b32 v16, 3, v16 :: v_dual_lshlrev_b32 v19, 2, v19
	v_cndmask_b32_e32 v17, 0, v17, vcc_lo
	v_and_b32_e32 v19, 0xfc, v19
	s_delay_alu instid0(VALU_DEP_2) | instskip(NEXT) | instid1(VALU_DEP_2)
	v_cmp_eq_u64_e32 vcc_lo, 0, v[16:17]
	v_and_or_b32 v5, v16, 3, v19
	s_and_b32 s9, s9, vcc_lo
	s_delay_alu instid0(VALU_DEP_1) | instid1(SALU_CYCLE_1)
	v_cndmask_b32_e64 v5, v5, 0, s9
	s_delay_alu instid0(VALU_DEP_1)
	v_or_b32_e32 v76, v5, v2
.LBB2_520:                              ;   in Loop: Header=BB2_130 Depth=3
	s_or_b32 exec_lo, exec_lo, s24
                                        ; implicit-def: $vgpr2
.LBB2_521:                              ;   in Loop: Header=BB2_130 Depth=3
	s_and_not1_saveexec_b32 s9, s23
; %bb.522:                              ;   in Loop: Header=BB2_130 Depth=3
	v_or_b32_e32 v76, 0x7b, v2
; %bb.523:                              ;   in Loop: Header=BB2_130 Depth=3
	s_or_b32 exec_lo, exec_lo, s9
                                        ; implicit-def: $vgpr5
                                        ; implicit-def: $vgpr16_vgpr17
                                        ; implicit-def: $vgpr2
.LBB2_524:                              ;   in Loop: Header=BB2_130 Depth=3
	s_and_not1_saveexec_b32 s9, s22
	s_cbranch_execz .LBB2_530
; %bb.525:                              ;   in Loop: Header=BB2_130 Depth=3
	s_mov_b32 s22, exec_lo
                                        ; implicit-def: $vgpr76
	v_cmpx_ne_u64_e32 0, v[16:17]
	s_xor_b32 s22, exec_lo, s22
; %bb.526:                              ;   in Loop: Header=BB2_130 Depth=3
	v_or_b32_e32 v76, 0x7f, v2
                                        ; implicit-def: $vgpr5
; %bb.527:                              ;   in Loop: Header=BB2_130 Depth=3
	s_and_not1_saveexec_b32 s22, s22
; %bb.528:                              ;   in Loop: Header=BB2_130 Depth=3
	v_cmp_lt_i32_e32 vcc_lo, -1, v5
	v_cndmask_b32_e32 v76, 0xfc, v58, vcc_lo
; %bb.529:                              ;   in Loop: Header=BB2_130 Depth=3
	s_or_b32 exec_lo, exec_lo, s22
.LBB2_530:                              ;   in Loop: Header=BB2_130 Depth=3
	s_delay_alu instid0(SALU_CYCLE_1) | instskip(SKIP_1) | instid1(VALU_DEP_1)
	s_or_b32 exec_lo, exec_lo, s9
	v_dual_lshrrev_b32 v16, 16, v18 :: v_dual_lshrrev_b32 v2, 16, v4
                                        ; implicit-def: $vgpr5
	v_and_b32_e32 v19, 0xff, v16
	s_delay_alu instid0(VALU_DEP_1) | instskip(SKIP_1) | instid1(SALU_CYCLE_1)
	v_cmp_ne_u16_e32 vcc_lo, 0, v19
	s_and_saveexec_b32 s9, s6
	s_xor_b32 s22, exec_lo, s9
	s_cbranch_execz .LBB2_552
; %bb.531:                              ;   in Loop: Header=BB2_130 Depth=3
	v_dual_mov_b32 v17, 0 :: v_dual_mov_b32 v5, 0
	s_and_saveexec_b32 s23, vcc_lo
	s_cbranch_execz .LBB2_541
; %bb.532:                              ;   in Loop: Header=BB2_130 Depth=3
	v_bfrev_b32_e32 v5, 1
	s_mov_b32 s24, exec_lo
	v_cmpx_ne_u16_e32 0x80, v19
	s_cbranch_execz .LBB2_540
; %bb.533:                              ;   in Loop: Header=BB2_130 Depth=3
	v_and_b32_e32 v5, 0x7c0000, v18
	v_bfe_u32 v19, v18, 16, 2
	s_delay_alu instid0(VALU_DEP_2) | instskip(SKIP_1) | instid1(SALU_CYCLE_1)
	v_cmp_ne_u32_e64 s9, 0x7c0000, v5
                                        ; implicit-def: $vgpr5
	s_and_saveexec_b32 s25, s9
	s_xor_b32 s25, exec_lo, s25
	s_cbranch_execz .LBB2_537
; %bb.534:                              ;   in Loop: Header=BB2_130 Depth=3
	v_bfe_u32 v5, v18, 18, 5
	s_mov_b32 s26, exec_lo
	s_delay_alu instid0(VALU_DEP_1)
	v_cmpx_eq_u32_e32 0, v5
; %bb.535:                              ;   in Loop: Header=BB2_130 Depth=3
	v_clz_i32_u32_e32 v5, v19
	s_delay_alu instid0(VALU_DEP_1) | instskip(NEXT) | instid1(VALU_DEP_1)
	v_min_u32_e32 v5, 32, v5
	v_subrev_nc_u32_e32 v19, 29, v5
	s_delay_alu instid0(VALU_DEP_1) | instskip(NEXT) | instid1(VALU_DEP_1)
	v_lshlrev_b64_e32 v[44:45], v19, v[16:17]
	v_dual_sub_nc_u32 v5, 30, v5 :: v_dual_bitop2_b32 v19, 3, v44 bitop3:0x40
; %bb.536:                              ;   in Loop: Header=BB2_130 Depth=3
	s_or_b32 exec_lo, exec_lo, s26
	v_lshlrev_b32_e32 v16, 24, v16
	s_delay_alu instid0(VALU_DEP_1) | instskip(NEXT) | instid1(VALU_DEP_1)
	v_and_b32_e32 v16, 0x80000000, v16
	v_lshl_add_u32 v5, v5, 23, v16
                                        ; implicit-def: $vgpr16
	s_delay_alu instid0(VALU_DEP_1) | instskip(NEXT) | instid1(VALU_DEP_1)
	v_lshl_or_b32 v5, v19, 21, v5
                                        ; implicit-def: $vgpr19
	v_add_nc_u32_e32 v5, 0x38000000, v5
.LBB2_537:                              ;   in Loop: Header=BB2_130 Depth=3
	s_and_not1_saveexec_b32 s25, s25
; %bb.538:                              ;   in Loop: Header=BB2_130 Depth=3
	v_bfe_i32 v5, v16, 0, 8
	s_delay_alu instid0(VALU_DEP_1) | instskip(NEXT) | instid1(VALU_DEP_1)
	v_cmp_lt_i16_e64 s9, -1, v5
	v_cndmask_b32_e64 v5, 0xff800000, v21, s9
	v_cmp_eq_u32_e64 s9, 0, v19
	s_delay_alu instid0(VALU_DEP_1)
	v_cndmask_b32_e64 v5, 0x7f800001, v5, s9
; %bb.539:                              ;   in Loop: Header=BB2_130 Depth=3
	s_or_b32 exec_lo, exec_lo, s25
.LBB2_540:                              ;   in Loop: Header=BB2_130 Depth=3
	s_delay_alu instid0(SALU_CYCLE_1)
	s_or_b32 exec_lo, exec_lo, s24
.LBB2_541:                              ;   in Loop: Header=BB2_130 Depth=3
	s_delay_alu instid0(SALU_CYCLE_1) | instskip(SKIP_2) | instid1(VALU_DEP_1)
	s_or_b32 exec_lo, exec_lo, s23
	v_and_b32_e32 v16, 0xff, v2
	s_mov_b32 s23, exec_lo
	v_cmpx_ne_u16_e32 0, v16
	s_cbranch_execz .LBB2_551
; %bb.542:                              ;   in Loop: Header=BB2_130 Depth=3
	v_bfrev_b32_e32 v17, 1
	s_mov_b32 s24, exec_lo
	v_cmpx_ne_u16_e32 0x80, v16
	s_cbranch_execz .LBB2_550
; %bb.543:                              ;   in Loop: Header=BB2_130 Depth=3
	v_and_b32_e32 v17, 0x7c0000, v4
	v_bfe_u32 v16, v4, 16, 2
	s_delay_alu instid0(VALU_DEP_2) | instskip(SKIP_1) | instid1(SALU_CYCLE_1)
	v_cmp_ne_u32_e64 s9, 0x7c0000, v17
                                        ; implicit-def: $vgpr17
	s_and_saveexec_b32 s25, s9
	s_xor_b32 s25, exec_lo, s25
	s_cbranch_execz .LBB2_547
; %bb.544:                              ;   in Loop: Header=BB2_130 Depth=3
	v_bfe_u32 v17, v4, 18, 5
	s_mov_b32 s26, exec_lo
	s_delay_alu instid0(VALU_DEP_1)
	v_cmpx_eq_u32_e32 0, v17
; %bb.545:                              ;   in Loop: Header=BB2_130 Depth=3
	v_clz_i32_u32_e32 v16, v16
	s_delay_alu instid0(VALU_DEP_1) | instskip(NEXT) | instid1(VALU_DEP_1)
	v_min_u32_e32 v19, 32, v16
	v_subrev_nc_u32_e32 v16, 29, v19
	s_delay_alu instid0(VALU_DEP_1) | instskip(NEXT) | instid1(VALU_DEP_1)
	v_lshlrev_b64_e32 v[16:17], v16, v[2:3]
	v_dual_sub_nc_u32 v17, 30, v19 :: v_dual_bitop2_b32 v16, 3, v16 bitop3:0x40
; %bb.546:                              ;   in Loop: Header=BB2_130 Depth=3
	s_or_b32 exec_lo, exec_lo, s26
	v_lshlrev_b32_e32 v2, 24, v2
	s_delay_alu instid0(VALU_DEP_1) | instskip(NEXT) | instid1(VALU_DEP_1)
	v_and_b32_e32 v2, 0x80000000, v2
	v_lshl_add_u32 v2, v17, 23, v2
	s_delay_alu instid0(VALU_DEP_1) | instskip(NEXT) | instid1(VALU_DEP_1)
	v_lshl_or_b32 v2, v16, 21, v2
                                        ; implicit-def: $vgpr16
	v_add_nc_u32_e32 v17, 0x38000000, v2
                                        ; implicit-def: $vgpr2
.LBB2_547:                              ;   in Loop: Header=BB2_130 Depth=3
	s_and_not1_saveexec_b32 s25, s25
; %bb.548:                              ;   in Loop: Header=BB2_130 Depth=3
	v_bfe_i32 v2, v2, 0, 8
	s_delay_alu instid0(VALU_DEP_1) | instskip(NEXT) | instid1(VALU_DEP_1)
	v_cmp_lt_i16_e64 s9, -1, v2
	v_cndmask_b32_e64 v2, 0xff800000, v21, s9
	v_cmp_eq_u32_e64 s9, 0, v16
	s_delay_alu instid0(VALU_DEP_1)
	v_cndmask_b32_e64 v17, 0x7f800001, v2, s9
; %bb.549:                              ;   in Loop: Header=BB2_130 Depth=3
	s_or_b32 exec_lo, exec_lo, s25
.LBB2_550:                              ;   in Loop: Header=BB2_130 Depth=3
	s_delay_alu instid0(SALU_CYCLE_1)
	s_or_b32 exec_lo, exec_lo, s24
.LBB2_551:                              ;   in Loop: Header=BB2_130 Depth=3
	s_delay_alu instid0(SALU_CYCLE_1) | instskip(NEXT) | instid1(VALU_DEP_1)
	s_or_b32 exec_lo, exec_lo, s23
	v_max_num_f32_e32 v2, v17, v17
	v_max_num_f32_e32 v5, v5, v5
                                        ; implicit-def: $vgpr19
                                        ; implicit-def: $vgpr16
	s_delay_alu instid0(VALU_DEP_1)
	v_max_num_f32_e32 v5, v5, v2
                                        ; implicit-def: $vgpr2
.LBB2_552:                              ;   in Loop: Header=BB2_130 Depth=3
	s_and_not1_saveexec_b32 s9, s22
	s_cbranch_execz .LBB2_574
; %bb.553:                              ;   in Loop: Header=BB2_130 Depth=3
	v_dual_mov_b32 v17, 0 :: v_dual_mov_b32 v5, 0
	s_and_saveexec_b32 s22, vcc_lo
	s_cbranch_execz .LBB2_563
; %bb.554:                              ;   in Loop: Header=BB2_130 Depth=3
	v_bfrev_b32_e32 v5, 1
	s_mov_b32 s23, exec_lo
	v_cmpx_ne_u16_e32 0x80, v19
	s_cbranch_execz .LBB2_562
; %bb.555:                              ;   in Loop: Header=BB2_130 Depth=3
	v_and_b32_e32 v5, 0x7c0000, v18
	v_bfe_u32 v19, v18, 16, 2
	s_delay_alu instid0(VALU_DEP_2) | instskip(SKIP_1) | instid1(SALU_CYCLE_1)
	v_cmp_ne_u32_e32 vcc_lo, 0x7c0000, v5
                                        ; implicit-def: $vgpr5
	s_and_saveexec_b32 s24, vcc_lo
	s_xor_b32 s24, exec_lo, s24
	s_cbranch_execz .LBB2_559
; %bb.556:                              ;   in Loop: Header=BB2_130 Depth=3
	v_bfe_u32 v5, v18, 18, 5
	s_mov_b32 s25, exec_lo
	s_delay_alu instid0(VALU_DEP_1)
	v_cmpx_eq_u32_e32 0, v5
; %bb.557:                              ;   in Loop: Header=BB2_130 Depth=3
	v_clz_i32_u32_e32 v5, v19
	s_delay_alu instid0(VALU_DEP_1) | instskip(NEXT) | instid1(VALU_DEP_1)
	v_min_u32_e32 v5, 32, v5
	v_subrev_nc_u32_e32 v19, 29, v5
	s_delay_alu instid0(VALU_DEP_1) | instskip(NEXT) | instid1(VALU_DEP_1)
	v_lshlrev_b64_e32 v[44:45], v19, v[16:17]
	v_dual_sub_nc_u32 v5, 30, v5 :: v_dual_bitop2_b32 v19, 3, v44 bitop3:0x40
; %bb.558:                              ;   in Loop: Header=BB2_130 Depth=3
	s_or_b32 exec_lo, exec_lo, s25
	v_lshlrev_b32_e32 v16, 24, v16
	s_delay_alu instid0(VALU_DEP_1) | instskip(NEXT) | instid1(VALU_DEP_1)
	v_and_b32_e32 v16, 0x80000000, v16
	v_lshl_add_u32 v5, v5, 23, v16
                                        ; implicit-def: $vgpr16
	s_delay_alu instid0(VALU_DEP_1) | instskip(NEXT) | instid1(VALU_DEP_1)
	v_lshl_or_b32 v5, v19, 21, v5
                                        ; implicit-def: $vgpr19
	v_add_nc_u32_e32 v5, 0x38000000, v5
.LBB2_559:                              ;   in Loop: Header=BB2_130 Depth=3
	s_and_not1_saveexec_b32 s24, s24
; %bb.560:                              ;   in Loop: Header=BB2_130 Depth=3
	v_bfe_i32 v5, v16, 0, 8
	s_delay_alu instid0(VALU_DEP_1) | instskip(SKIP_2) | instid1(VALU_DEP_2)
	v_cmp_lt_i16_e32 vcc_lo, -1, v5
	v_cndmask_b32_e32 v5, 0xff800000, v21, vcc_lo
	v_cmp_eq_u32_e32 vcc_lo, 0, v19
	v_cndmask_b32_e32 v5, 0x7f800001, v5, vcc_lo
; %bb.561:                              ;   in Loop: Header=BB2_130 Depth=3
	s_or_b32 exec_lo, exec_lo, s24
.LBB2_562:                              ;   in Loop: Header=BB2_130 Depth=3
	s_delay_alu instid0(SALU_CYCLE_1)
	s_or_b32 exec_lo, exec_lo, s23
.LBB2_563:                              ;   in Loop: Header=BB2_130 Depth=3
	s_delay_alu instid0(SALU_CYCLE_1) | instskip(SKIP_2) | instid1(VALU_DEP_1)
	s_or_b32 exec_lo, exec_lo, s22
	v_and_b32_e32 v16, 0xff, v2
	s_mov_b32 s22, exec_lo
	v_cmpx_ne_u16_e32 0, v16
	s_cbranch_execz .LBB2_573
; %bb.564:                              ;   in Loop: Header=BB2_130 Depth=3
	v_bfrev_b32_e32 v17, 1
	s_mov_b32 s23, exec_lo
	v_cmpx_ne_u16_e32 0x80, v16
	s_cbranch_execz .LBB2_572
; %bb.565:                              ;   in Loop: Header=BB2_130 Depth=3
	v_and_b32_e32 v17, 0x7c0000, v4
	v_bfe_u32 v16, v4, 16, 2
	s_delay_alu instid0(VALU_DEP_2) | instskip(SKIP_1) | instid1(SALU_CYCLE_1)
	v_cmp_ne_u32_e32 vcc_lo, 0x7c0000, v17
                                        ; implicit-def: $vgpr17
	s_and_saveexec_b32 s24, vcc_lo
	s_xor_b32 s24, exec_lo, s24
	s_cbranch_execz .LBB2_569
; %bb.566:                              ;   in Loop: Header=BB2_130 Depth=3
	v_bfe_u32 v17, v4, 18, 5
	s_mov_b32 s25, exec_lo
	s_delay_alu instid0(VALU_DEP_1)
	v_cmpx_eq_u32_e32 0, v17
; %bb.567:                              ;   in Loop: Header=BB2_130 Depth=3
	v_clz_i32_u32_e32 v16, v16
	s_delay_alu instid0(VALU_DEP_1) | instskip(NEXT) | instid1(VALU_DEP_1)
	v_min_u32_e32 v19, 32, v16
	v_subrev_nc_u32_e32 v16, 29, v19
	s_delay_alu instid0(VALU_DEP_1) | instskip(NEXT) | instid1(VALU_DEP_1)
	v_lshlrev_b64_e32 v[16:17], v16, v[2:3]
	v_dual_sub_nc_u32 v17, 30, v19 :: v_dual_bitop2_b32 v16, 3, v16 bitop3:0x40
; %bb.568:                              ;   in Loop: Header=BB2_130 Depth=3
	s_or_b32 exec_lo, exec_lo, s25
	v_lshlrev_b32_e32 v2, 24, v2
	s_delay_alu instid0(VALU_DEP_1) | instskip(NEXT) | instid1(VALU_DEP_1)
	v_and_b32_e32 v2, 0x80000000, v2
	v_lshl_add_u32 v2, v17, 23, v2
	s_delay_alu instid0(VALU_DEP_1) | instskip(NEXT) | instid1(VALU_DEP_1)
	v_lshl_or_b32 v2, v16, 21, v2
                                        ; implicit-def: $vgpr16
	v_add_nc_u32_e32 v17, 0x38000000, v2
                                        ; implicit-def: $vgpr2
.LBB2_569:                              ;   in Loop: Header=BB2_130 Depth=3
	s_and_not1_saveexec_b32 s24, s24
; %bb.570:                              ;   in Loop: Header=BB2_130 Depth=3
	v_bfe_i32 v2, v2, 0, 8
	s_delay_alu instid0(VALU_DEP_1) | instskip(SKIP_2) | instid1(VALU_DEP_2)
	v_cmp_lt_i16_e32 vcc_lo, -1, v2
	v_cndmask_b32_e32 v2, 0xff800000, v21, vcc_lo
	v_cmp_eq_u32_e32 vcc_lo, 0, v16
	v_cndmask_b32_e32 v17, 0x7f800001, v2, vcc_lo
; %bb.571:                              ;   in Loop: Header=BB2_130 Depth=3
	s_or_b32 exec_lo, exec_lo, s24
.LBB2_572:                              ;   in Loop: Header=BB2_130 Depth=3
	s_delay_alu instid0(SALU_CYCLE_1)
	s_or_b32 exec_lo, exec_lo, s23
.LBB2_573:                              ;   in Loop: Header=BB2_130 Depth=3
	s_delay_alu instid0(SALU_CYCLE_1) | instskip(NEXT) | instid1(VALU_DEP_1)
	s_or_b32 exec_lo, exec_lo, s22
	v_max_num_f32_e32 v2, v17, v17
	v_max_num_f32_e32 v5, v5, v5
	s_delay_alu instid0(VALU_DEP_1)
	v_min_num_f32_e32 v5, v5, v2
.LBB2_574:                              ;   in Loop: Header=BB2_130 Depth=3
	s_or_b32 exec_lo, exec_lo, s9
	s_delay_alu instid0(VALU_DEP_1) | instskip(SKIP_4) | instid1(VALU_DEP_3)
	v_and_b32_e32 v44, 0x7f800000, v5
	v_dual_mov_b32 v45, v55 :: v_dual_mov_b32 v17, v55
	v_and_b32_e32 v16, 0x7fffff, v5
	v_lshrrev_b32_e32 v2, 24, v5
                                        ; implicit-def: $vgpr77
	s_mov_b32 s9, exec_lo
	v_cmpx_ne_u64_e32 0x7f800000, v[44:45]
	s_xor_b32 s22, exec_lo, s9
	s_cbranch_execz .LBB2_588
; %bb.575:                              ;   in Loop: Header=BB2_130 Depth=3
	v_and_b32_e32 v44, 0x7fffffff, v5
	v_mov_b32_e32 v45, v55
	v_and_b32_e32 v2, 0x80, v2
                                        ; implicit-def: $vgpr77
	s_mov_b32 s9, exec_lo
	s_delay_alu instid0(VALU_DEP_2)
	v_cmpx_gt_u64_e32 0x47600001, v[44:45]
	s_xor_b32 s23, exec_lo, s9
	s_cbranch_execz .LBB2_585
; %bb.576:                              ;   in Loop: Header=BB2_130 Depth=3
	v_mov_b32_e32 v77, 0
	s_mov_b32 s24, exec_lo
	v_cmpx_ne_u32_e32 0, v5
	s_cbranch_execz .LBB2_584
; %bb.577:                              ;   in Loop: Header=BB2_130 Depth=3
	v_bfe_u32 v5, v5, 23, 8
	v_or_b32_e32 v77, 0x800000, v16
	s_delay_alu instid0(VALU_DEP_2) | instskip(SKIP_1) | instid1(VALU_DEP_2)
	v_sub_nc_u32_e32 v19, 0x71, v5
	v_cmp_gt_u32_e32 vcc_lo, 0x72, v5
	v_cndmask_b32_e32 v19, 0, v19, vcc_lo
	v_cmp_eq_u32_e32 vcc_lo, 0, v5
	s_delay_alu instid0(VALU_DEP_2) | instskip(NEXT) | instid1(VALU_DEP_1)
	v_cndmask_b32_e64 v19, v19, 0x70, vcc_lo
	v_dual_cndmask_b32 v16, v77, v16, vcc_lo :: v_dual_add_nc_u32 v30, 21, v19
	s_delay_alu instid0(VALU_DEP_1) | instskip(SKIP_1) | instid1(VALU_DEP_1)
	v_lshlrev_b64_e64 v[44:45], v30, -1
	v_add_nc_u32_e32 v30, 20, v19
	v_lshlrev_b64_e64 v[78:79], v30, 1
	s_delay_alu instid0(VALU_DEP_3) | instskip(SKIP_2) | instid1(VALU_DEP_1)
	v_bfi_b32 v44, v44, 0, v16
	v_lshrrev_b64 v[16:17], v19, v[16:17]
	v_bfi_b32 v45, v45, 0, 0
	v_cmp_eq_u64_e64 s9, v[44:45], v[78:79]
	s_delay_alu instid0(VALU_DEP_3)
	v_mov_b64_e32 v[44:45], v[16:17]
	s_and_saveexec_b32 s25, s9
; %bb.578:                              ;   in Loop: Header=BB2_130 Depth=3
	v_bfe_u32 v44, v16, 21, 1
	v_mov_b32_e32 v45, v55
	s_delay_alu instid0(VALU_DEP_1) | instskip(NEXT) | instid1(VALU_DEP_1)
	v_add_nc_u64_e32 v[44:45], v[16:17], v[44:45]
	v_add_nc_u64_e32 v[44:45], -1, v[44:45]
; %bb.579:                              ;   in Loop: Header=BB2_130 Depth=3
	s_or_b32 exec_lo, exec_lo, s25
	v_add_nc_u32_e32 v5, 0xffffff81, v5
	v_lshrrev_b32_e32 v17, 23, v16
	s_mov_b32 s9, exec_lo
	s_delay_alu instid0(VALU_DEP_2) | instskip(NEXT) | instid1(VALU_DEP_1)
	v_cndmask_b32_e64 v5, v5, 0xffffff82, vcc_lo
	v_add3_u32 v19, v19, v5, v17
	v_and_b32_e32 v5, 0x1fffff, v44
	s_delay_alu instid0(VALU_DEP_2) | instskip(NEXT) | instid1(VALU_DEP_2)
	v_dual_mov_b32 v17, v55 :: v_dual_add_nc_u32 v30, 14, v19
	v_add_nc_u32_e32 v16, v5, v16
                                        ; implicit-def: $vgpr5
	s_delay_alu instid0(VALU_DEP_2)
	v_cmpx_ne_u32_e32 0, v30
	s_xor_b32 s9, exec_lo, s9
; %bb.580:                              ;   in Loop: Header=BB2_130 Depth=3
	s_delay_alu instid0(VALU_DEP_2) | instskip(SKIP_2) | instid1(VALU_DEP_2)
	v_cmp_lt_u64_e32 vcc_lo, 0xffffff, v[16:17]
	v_add_nc_u32_e32 v5, 15, v19
	v_cndmask_b32_e64 v19, 0, 1, vcc_lo
	v_cndmask_b32_e32 v5, v30, v5, vcc_lo
	s_delay_alu instid0(VALU_DEP_2)
	v_lshrrev_b64 v[16:17], v19, v[16:17]
; %bb.581:                              ;   in Loop: Header=BB2_130 Depth=3
	s_and_not1_saveexec_b32 s9, s9
; %bb.582:                              ;   in Loop: Header=BB2_130 Depth=3
	s_delay_alu instid0(VALU_DEP_1)
	v_bfe_u32 v5, v16, 23, 1
; %bb.583:                              ;   in Loop: Header=BB2_130 Depth=3
	s_or_b32 exec_lo, exec_lo, s9
	s_delay_alu instid0(VALU_DEP_2) | instskip(NEXT) | instid1(VALU_DEP_2)
	v_lshrrev_b64 v[16:17], 21, v[16:17]
	v_cmp_gt_i32_e32 vcc_lo, 32, v5
	v_min_i32_e32 v19, 31, v5
	v_cmp_eq_u32_e64 s9, 0, v5
	s_delay_alu instid0(VALU_DEP_2) | instskip(SKIP_1) | instid1(VALU_DEP_2)
	v_dual_cndmask_b32 v16, 3, v16 :: v_dual_lshlrev_b32 v19, 2, v19
	v_cndmask_b32_e32 v17, 0, v17, vcc_lo
	v_and_b32_e32 v19, 0xfc, v19
	s_delay_alu instid0(VALU_DEP_2) | instskip(NEXT) | instid1(VALU_DEP_2)
	v_cmp_eq_u64_e32 vcc_lo, 0, v[16:17]
	v_and_or_b32 v5, v16, 3, v19
	s_and_b32 s9, s9, vcc_lo
	s_delay_alu instid0(VALU_DEP_1) | instid1(SALU_CYCLE_1)
	v_cndmask_b32_e64 v5, v5, 0, s9
	s_delay_alu instid0(VALU_DEP_1)
	v_or_b32_e32 v77, v5, v2
.LBB2_584:                              ;   in Loop: Header=BB2_130 Depth=3
	s_or_b32 exec_lo, exec_lo, s24
                                        ; implicit-def: $vgpr2
.LBB2_585:                              ;   in Loop: Header=BB2_130 Depth=3
	s_and_not1_saveexec_b32 s9, s23
; %bb.586:                              ;   in Loop: Header=BB2_130 Depth=3
	v_or_b32_e32 v77, 0x7b, v2
; %bb.587:                              ;   in Loop: Header=BB2_130 Depth=3
	s_or_b32 exec_lo, exec_lo, s9
                                        ; implicit-def: $vgpr5
                                        ; implicit-def: $vgpr16_vgpr17
                                        ; implicit-def: $vgpr2
.LBB2_588:                              ;   in Loop: Header=BB2_130 Depth=3
	s_and_not1_saveexec_b32 s9, s22
	s_cbranch_execz .LBB2_594
; %bb.589:                              ;   in Loop: Header=BB2_130 Depth=3
	s_mov_b32 s22, exec_lo
                                        ; implicit-def: $vgpr77
	v_cmpx_ne_u64_e32 0, v[16:17]
	s_xor_b32 s22, exec_lo, s22
; %bb.590:                              ;   in Loop: Header=BB2_130 Depth=3
	v_or_b32_e32 v77, 0x7f, v2
                                        ; implicit-def: $vgpr5
; %bb.591:                              ;   in Loop: Header=BB2_130 Depth=3
	s_and_not1_saveexec_b32 s22, s22
; %bb.592:                              ;   in Loop: Header=BB2_130 Depth=3
	v_cmp_lt_i32_e32 vcc_lo, -1, v5
	v_cndmask_b32_e32 v77, 0xfc, v58, vcc_lo
; %bb.593:                              ;   in Loop: Header=BB2_130 Depth=3
	s_or_b32 exec_lo, exec_lo, s22
.LBB2_594:                              ;   in Loop: Header=BB2_130 Depth=3
	s_delay_alu instid0(SALU_CYCLE_1) | instskip(SKIP_3) | instid1(VALU_DEP_3)
	s_or_b32 exec_lo, exec_lo, s9
	v_dual_mov_b32 v44, v55 :: v_dual_mov_b32 v45, v18
	v_dual_lshrrev_b32 v30, 24, v18 :: v_dual_lshrrev_b32 v2, 24, v4
	v_dual_mov_b32 v16, v55 :: v_dual_mov_b32 v17, v4
	v_cmp_lt_u64_e32 vcc_lo, s[12:13], v[44:45]
                                        ; implicit-def: $vgpr78
	s_and_saveexec_b32 s9, s6
	s_delay_alu instid0(SALU_CYCLE_1)
	s_xor_b32 s22, exec_lo, s9
	s_cbranch_execz .LBB2_616
; %bb.595:                              ;   in Loop: Header=BB2_130 Depth=3
	v_dual_mov_b32 v19, 0 :: v_dual_mov_b32 v5, 0
	s_and_saveexec_b32 s23, vcc_lo
	s_cbranch_execz .LBB2_605
; %bb.596:                              ;   in Loop: Header=BB2_130 Depth=3
	v_bfrev_b32_e32 v5, 1
	s_mov_b32 s24, exec_lo
	v_cmpx_ne_u32_e32 0x80, v30
	s_cbranch_execz .LBB2_604
; %bb.597:                              ;   in Loop: Header=BB2_130 Depth=3
	v_and_b32_e32 v5, 0x7c000000, v18
	v_bfe_u32 v78, v18, 24, 2
	s_delay_alu instid0(VALU_DEP_2) | instskip(SKIP_1) | instid1(SALU_CYCLE_1)
	v_cmp_ne_u32_e64 s9, 0x7c000000, v5
                                        ; implicit-def: $vgpr5
	s_and_saveexec_b32 s25, s9
	s_xor_b32 s25, exec_lo, s25
	s_cbranch_execz .LBB2_601
; %bb.598:                              ;   in Loop: Header=BB2_130 Depth=3
	v_bfe_u32 v5, v18, 26, 5
	s_mov_b32 s26, exec_lo
	s_delay_alu instid0(VALU_DEP_1)
	v_cmpx_eq_u32_e32 0, v5
; %bb.599:                              ;   in Loop: Header=BB2_130 Depth=3
	v_clz_i32_u32_e32 v5, v78
	s_delay_alu instid0(VALU_DEP_1) | instskip(NEXT) | instid1(VALU_DEP_1)
	v_min_u32_e32 v5, 32, v5
	v_subrev_nc_u32_e32 v44, 29, v5
	s_delay_alu instid0(VALU_DEP_1) | instskip(NEXT) | instid1(VALU_DEP_1)
	v_lshlrev_b64_e32 v[44:45], v44, v[30:31]
	v_dual_sub_nc_u32 v5, 30, v5 :: v_dual_bitop2_b32 v78, 3, v44 bitop3:0x40
; %bb.600:                              ;   in Loop: Header=BB2_130 Depth=3
	s_or_b32 exec_lo, exec_lo, s26
	v_and_b32_e32 v18, 0x80000000, v18
                                        ; implicit-def: $vgpr44_vgpr45
	s_delay_alu instid0(VALU_DEP_1) | instskip(NEXT) | instid1(VALU_DEP_1)
	v_lshl_add_u32 v5, v5, 23, v18
	v_lshl_or_b32 v5, v78, 21, v5
                                        ; implicit-def: $vgpr78
	s_delay_alu instid0(VALU_DEP_1)
	v_add_nc_u32_e32 v5, 0x38000000, v5
.LBB2_601:                              ;   in Loop: Header=BB2_130 Depth=3
	s_and_not1_saveexec_b32 s25, s25
; %bb.602:                              ;   in Loop: Header=BB2_130 Depth=3
	v_cmp_lt_i64_e64 s9, -1, v[44:45]
	s_delay_alu instid0(VALU_DEP_1) | instskip(SKIP_1) | instid1(VALU_DEP_1)
	v_cndmask_b32_e64 v5, 0xff800000, v21, s9
	v_cmp_eq_u32_e64 s9, 0, v78
	v_cndmask_b32_e64 v5, 0x7f800001, v5, s9
; %bb.603:                              ;   in Loop: Header=BB2_130 Depth=3
	s_or_b32 exec_lo, exec_lo, s25
.LBB2_604:                              ;   in Loop: Header=BB2_130 Depth=3
	s_delay_alu instid0(SALU_CYCLE_1)
	s_or_b32 exec_lo, exec_lo, s24
.LBB2_605:                              ;   in Loop: Header=BB2_130 Depth=3
	s_delay_alu instid0(SALU_CYCLE_1) | instskip(NEXT) | instid1(SALU_CYCLE_1)
	s_or_b32 exec_lo, exec_lo, s23
	s_mov_b32 s23, exec_lo
	v_cmpx_lt_u32_e32 0xffffff, v4
	s_cbranch_execz .LBB2_615
; %bb.606:                              ;   in Loop: Header=BB2_130 Depth=3
	v_bfrev_b32_e32 v19, 1
	s_mov_b32 s24, exec_lo
	v_cmpx_ne_u32_e32 0x80, v2
	s_cbranch_execz .LBB2_614
; %bb.607:                              ;   in Loop: Header=BB2_130 Depth=3
	v_and_b32_e32 v19, 0x7c000000, v4
	v_bfe_u32 v18, v4, 24, 2
	s_delay_alu instid0(VALU_DEP_2) | instskip(SKIP_1) | instid1(SALU_CYCLE_1)
	v_cmp_ne_u32_e64 s9, 0x7c000000, v19
                                        ; implicit-def: $vgpr19
	s_and_saveexec_b32 s25, s9
	s_xor_b32 s25, exec_lo, s25
	s_cbranch_execz .LBB2_611
; %bb.608:                              ;   in Loop: Header=BB2_130 Depth=3
	v_bfe_u32 v16, v4, 26, 5
	s_mov_b32 s26, exec_lo
	s_delay_alu instid0(VALU_DEP_1)
	v_cmpx_eq_u32_e32 0, v16
; %bb.609:                              ;   in Loop: Header=BB2_130 Depth=3
	v_clz_i32_u32_e32 v16, v18
	s_delay_alu instid0(VALU_DEP_1) | instskip(NEXT) | instid1(VALU_DEP_1)
	v_min_u32_e32 v16, 32, v16
	v_subrev_nc_u32_e32 v17, 29, v16
	s_delay_alu instid0(VALU_DEP_1) | instskip(NEXT) | instid1(VALU_DEP_1)
	v_lshlrev_b64_e32 v[18:19], v17, v[2:3]
	v_dual_sub_nc_u32 v16, 30, v16 :: v_dual_bitop2_b32 v18, 3, v18 bitop3:0x40
; %bb.610:                              ;   in Loop: Header=BB2_130 Depth=3
	s_or_b32 exec_lo, exec_lo, s26
	v_and_b32_e32 v2, 0x80000000, v4
	s_delay_alu instid0(VALU_DEP_1) | instskip(NEXT) | instid1(VALU_DEP_1)
	v_lshl_add_u32 v2, v16, 23, v2
                                        ; implicit-def: $vgpr16_vgpr17
	v_lshl_or_b32 v2, v18, 21, v2
                                        ; implicit-def: $vgpr18
	s_delay_alu instid0(VALU_DEP_1)
	v_add_nc_u32_e32 v19, 0x38000000, v2
.LBB2_611:                              ;   in Loop: Header=BB2_130 Depth=3
	s_and_not1_saveexec_b32 s25, s25
; %bb.612:                              ;   in Loop: Header=BB2_130 Depth=3
	v_cmp_lt_i64_e64 s9, -1, v[16:17]
	s_delay_alu instid0(VALU_DEP_1) | instskip(SKIP_1) | instid1(VALU_DEP_1)
	v_cndmask_b32_e64 v2, 0xff800000, v21, s9
	v_cmp_eq_u32_e64 s9, 0, v18
	v_cndmask_b32_e64 v19, 0x7f800001, v2, s9
; %bb.613:                              ;   in Loop: Header=BB2_130 Depth=3
	s_or_b32 exec_lo, exec_lo, s25
.LBB2_614:                              ;   in Loop: Header=BB2_130 Depth=3
	s_delay_alu instid0(SALU_CYCLE_1)
	s_or_b32 exec_lo, exec_lo, s24
.LBB2_615:                              ;   in Loop: Header=BB2_130 Depth=3
	s_delay_alu instid0(SALU_CYCLE_1) | instskip(NEXT) | instid1(VALU_DEP_1)
	s_or_b32 exec_lo, exec_lo, s23
	v_dual_max_num_f32 v2, v19, v19 :: v_dual_max_num_f32 v4, v5, v5
                                        ; implicit-def: $vgpr30
                                        ; implicit-def: $vgpr16_vgpr17
                                        ; implicit-def: $vgpr44_vgpr45
                                        ; implicit-def: $vgpr18_vgpr19
	s_delay_alu instid0(VALU_DEP_1)
	v_max_num_f32_e32 v78, v4, v2
                                        ; implicit-def: $vgpr4_vgpr5
                                        ; implicit-def: $vgpr2
.LBB2_616:                              ;   in Loop: Header=BB2_130 Depth=3
	s_and_not1_saveexec_b32 s9, s22
	s_cbranch_execz .LBB2_638
; %bb.617:                              ;   in Loop: Header=BB2_130 Depth=3
	v_dual_mov_b32 v19, 0 :: v_dual_mov_b32 v5, 0
	s_and_saveexec_b32 s22, vcc_lo
	s_cbranch_execz .LBB2_627
; %bb.618:                              ;   in Loop: Header=BB2_130 Depth=3
	v_bfrev_b32_e32 v5, 1
	s_mov_b32 s23, exec_lo
	v_cmpx_ne_u32_e32 0x80, v30
	s_cbranch_execz .LBB2_626
; %bb.619:                              ;   in Loop: Header=BB2_130 Depth=3
	v_and_b32_e32 v5, 0x7c000000, v18
	v_bfe_u32 v78, v18, 24, 2
	s_delay_alu instid0(VALU_DEP_2) | instskip(SKIP_1) | instid1(SALU_CYCLE_1)
	v_cmp_ne_u32_e32 vcc_lo, 0x7c000000, v5
                                        ; implicit-def: $vgpr5
	s_and_saveexec_b32 s24, vcc_lo
	s_xor_b32 s24, exec_lo, s24
	s_cbranch_execz .LBB2_623
; %bb.620:                              ;   in Loop: Header=BB2_130 Depth=3
	v_bfe_u32 v5, v18, 26, 5
	s_mov_b32 s25, exec_lo
	s_delay_alu instid0(VALU_DEP_1)
	v_cmpx_eq_u32_e32 0, v5
; %bb.621:                              ;   in Loop: Header=BB2_130 Depth=3
	v_clz_i32_u32_e32 v5, v78
	s_delay_alu instid0(VALU_DEP_1) | instskip(NEXT) | instid1(VALU_DEP_1)
	v_min_u32_e32 v5, 32, v5
	v_subrev_nc_u32_e32 v44, 29, v5
	s_delay_alu instid0(VALU_DEP_1) | instskip(NEXT) | instid1(VALU_DEP_1)
	v_lshlrev_b64_e32 v[44:45], v44, v[30:31]
	v_dual_sub_nc_u32 v5, 30, v5 :: v_dual_bitop2_b32 v78, 3, v44 bitop3:0x40
; %bb.622:                              ;   in Loop: Header=BB2_130 Depth=3
	s_or_b32 exec_lo, exec_lo, s25
	v_and_b32_e32 v18, 0x80000000, v18
                                        ; implicit-def: $vgpr44_vgpr45
	s_delay_alu instid0(VALU_DEP_1) | instskip(NEXT) | instid1(VALU_DEP_1)
	v_lshl_add_u32 v5, v5, 23, v18
	v_lshl_or_b32 v5, v78, 21, v5
                                        ; implicit-def: $vgpr78
	s_delay_alu instid0(VALU_DEP_1)
	v_add_nc_u32_e32 v5, 0x38000000, v5
.LBB2_623:                              ;   in Loop: Header=BB2_130 Depth=3
	s_and_not1_saveexec_b32 s24, s24
; %bb.624:                              ;   in Loop: Header=BB2_130 Depth=3
	v_cmp_lt_i64_e32 vcc_lo, -1, v[44:45]
	v_cndmask_b32_e32 v5, 0xff800000, v21, vcc_lo
	v_cmp_eq_u32_e32 vcc_lo, 0, v78
	s_delay_alu instid0(VALU_DEP_2)
	v_cndmask_b32_e32 v5, 0x7f800001, v5, vcc_lo
; %bb.625:                              ;   in Loop: Header=BB2_130 Depth=3
	s_or_b32 exec_lo, exec_lo, s24
.LBB2_626:                              ;   in Loop: Header=BB2_130 Depth=3
	s_delay_alu instid0(SALU_CYCLE_1)
	s_or_b32 exec_lo, exec_lo, s23
.LBB2_627:                              ;   in Loop: Header=BB2_130 Depth=3
	s_delay_alu instid0(SALU_CYCLE_1) | instskip(NEXT) | instid1(SALU_CYCLE_1)
	s_or_b32 exec_lo, exec_lo, s22
	s_mov_b32 s22, exec_lo
	v_cmpx_lt_u32_e32 0xffffff, v4
	s_cbranch_execz .LBB2_637
; %bb.628:                              ;   in Loop: Header=BB2_130 Depth=3
	v_bfrev_b32_e32 v19, 1
	s_mov_b32 s23, exec_lo
	v_cmpx_ne_u32_e32 0x80, v2
	s_cbranch_execz .LBB2_636
; %bb.629:                              ;   in Loop: Header=BB2_130 Depth=3
	v_and_b32_e32 v19, 0x7c000000, v4
	v_bfe_u32 v18, v4, 24, 2
	s_delay_alu instid0(VALU_DEP_2) | instskip(SKIP_1) | instid1(SALU_CYCLE_1)
	v_cmp_ne_u32_e32 vcc_lo, 0x7c000000, v19
                                        ; implicit-def: $vgpr19
	s_and_saveexec_b32 s24, vcc_lo
	s_xor_b32 s24, exec_lo, s24
	s_cbranch_execz .LBB2_633
; %bb.630:                              ;   in Loop: Header=BB2_130 Depth=3
	v_bfe_u32 v16, v4, 26, 5
	s_mov_b32 s25, exec_lo
	s_delay_alu instid0(VALU_DEP_1)
	v_cmpx_eq_u32_e32 0, v16
; %bb.631:                              ;   in Loop: Header=BB2_130 Depth=3
	v_clz_i32_u32_e32 v16, v18
	s_delay_alu instid0(VALU_DEP_1) | instskip(NEXT) | instid1(VALU_DEP_1)
	v_min_u32_e32 v16, 32, v16
	v_subrev_nc_u32_e32 v17, 29, v16
	s_delay_alu instid0(VALU_DEP_1) | instskip(NEXT) | instid1(VALU_DEP_1)
	v_lshlrev_b64_e32 v[18:19], v17, v[2:3]
	v_dual_sub_nc_u32 v16, 30, v16 :: v_dual_bitop2_b32 v18, 3, v18 bitop3:0x40
; %bb.632:                              ;   in Loop: Header=BB2_130 Depth=3
	s_or_b32 exec_lo, exec_lo, s25
	v_and_b32_e32 v2, 0x80000000, v4
	s_delay_alu instid0(VALU_DEP_1) | instskip(NEXT) | instid1(VALU_DEP_1)
	v_lshl_add_u32 v2, v16, 23, v2
                                        ; implicit-def: $vgpr16_vgpr17
	v_lshl_or_b32 v2, v18, 21, v2
                                        ; implicit-def: $vgpr18
	s_delay_alu instid0(VALU_DEP_1)
	v_add_nc_u32_e32 v19, 0x38000000, v2
.LBB2_633:                              ;   in Loop: Header=BB2_130 Depth=3
	s_and_not1_saveexec_b32 s24, s24
; %bb.634:                              ;   in Loop: Header=BB2_130 Depth=3
	v_cmp_lt_i64_e32 vcc_lo, -1, v[16:17]
	v_cndmask_b32_e32 v2, 0xff800000, v21, vcc_lo
	v_cmp_eq_u32_e32 vcc_lo, 0, v18
	s_delay_alu instid0(VALU_DEP_2)
	v_cndmask_b32_e32 v19, 0x7f800001, v2, vcc_lo
; %bb.635:                              ;   in Loop: Header=BB2_130 Depth=3
	s_or_b32 exec_lo, exec_lo, s24
.LBB2_636:                              ;   in Loop: Header=BB2_130 Depth=3
	s_delay_alu instid0(SALU_CYCLE_1)
	s_or_b32 exec_lo, exec_lo, s23
.LBB2_637:                              ;   in Loop: Header=BB2_130 Depth=3
	s_delay_alu instid0(SALU_CYCLE_1) | instskip(NEXT) | instid1(VALU_DEP_1)
	s_or_b32 exec_lo, exec_lo, s22
	v_dual_max_num_f32 v2, v19, v19 :: v_dual_max_num_f32 v4, v5, v5
	s_delay_alu instid0(VALU_DEP_1)
	v_min_num_f32_e32 v78, v4, v2
.LBB2_638:                              ;   in Loop: Header=BB2_130 Depth=3
	s_or_b32 exec_lo, exec_lo, s9
	s_delay_alu instid0(VALU_DEP_1) | instskip(SKIP_3) | instid1(VALU_DEP_3)
	v_and_b32_e32 v16, 0x7f800000, v78
	v_dual_mov_b32 v17, v55 :: v_dual_mov_b32 v5, v55
	v_and_b32_e32 v4, 0x7fffff, v78
	v_lshrrev_b32_e32 v2, 24, v78
	v_cmp_ne_u64_e32 vcc_lo, 0x7f800000, v[16:17]
                                        ; implicit-def: $vgpr16
	s_and_saveexec_b32 s9, vcc_lo
	s_delay_alu instid0(SALU_CYCLE_1)
	s_xor_b32 s22, exec_lo, s9
	s_cbranch_execz .LBB2_652
; %bb.639:                              ;   in Loop: Header=BB2_130 Depth=3
	v_and_b32_e32 v16, 0x7fffffff, v78
	v_mov_b32_e32 v17, v55
	v_and_b32_e32 v2, 0x80, v2
	s_delay_alu instid0(VALU_DEP_2) | instskip(SKIP_1) | instid1(SALU_CYCLE_1)
	v_cmp_gt_u64_e32 vcc_lo, 0x47600001, v[16:17]
                                        ; implicit-def: $vgpr16
	s_and_saveexec_b32 s9, vcc_lo
	s_xor_b32 s23, exec_lo, s9
	s_cbranch_execz .LBB2_649
; %bb.640:                              ;   in Loop: Header=BB2_130 Depth=3
	v_mov_b32_e32 v16, 0
	s_mov_b32 s24, exec_lo
	v_cmpx_ne_u32_e32 0, v78
	s_cbranch_execz .LBB2_648
; %bb.641:                              ;   in Loop: Header=BB2_130 Depth=3
	v_bfe_u32 v18, v78, 23, 8
	v_or_b32_e32 v30, 0x800000, v4
	s_delay_alu instid0(VALU_DEP_2) | instskip(SKIP_1) | instid1(VALU_DEP_2)
	v_sub_nc_u32_e32 v16, 0x71, v18
	v_cmp_gt_u32_e32 vcc_lo, 0x72, v18
	v_cndmask_b32_e32 v16, 0, v16, vcc_lo
	v_cmp_eq_u32_e32 vcc_lo, 0, v18
	s_delay_alu instid0(VALU_DEP_2) | instskip(NEXT) | instid1(VALU_DEP_1)
	v_cndmask_b32_e64 v19, v16, 0x70, vcc_lo
	v_dual_cndmask_b32 v4, v30, v4, vcc_lo :: v_dual_add_nc_u32 v16, 21, v19
	v_add_nc_u32_e32 v44, 20, v19
	s_delay_alu instid0(VALU_DEP_2) | instskip(NEXT) | instid1(VALU_DEP_2)
	v_lshlrev_b64_e64 v[16:17], v16, -1
	v_lshlrev_b64_e64 v[44:45], v44, 1
	s_delay_alu instid0(VALU_DEP_2) | instskip(SKIP_1) | instid1(VALU_DEP_4)
	v_bfi_b32 v16, v16, 0, v4
	v_lshrrev_b64 v[4:5], v19, v[4:5]
	v_bfi_b32 v17, v17, 0, 0
	s_delay_alu instid0(VALU_DEP_1) | instskip(NEXT) | instid1(VALU_DEP_3)
	v_cmp_eq_u64_e64 s9, v[16:17], v[44:45]
	v_mov_b64_e32 v[16:17], v[4:5]
	s_and_saveexec_b32 s25, s9
; %bb.642:                              ;   in Loop: Header=BB2_130 Depth=3
	v_bfe_u32 v16, v4, 21, 1
	v_mov_b32_e32 v17, v55
	s_delay_alu instid0(VALU_DEP_1) | instskip(NEXT) | instid1(VALU_DEP_1)
	v_add_nc_u64_e32 v[16:17], v[4:5], v[16:17]
	v_add_nc_u64_e32 v[16:17], -1, v[16:17]
; %bb.643:                              ;   in Loop: Header=BB2_130 Depth=3
	s_or_b32 exec_lo, exec_lo, s25
	v_add_nc_u32_e32 v5, 0xffffff81, v18
	v_lshrrev_b32_e32 v17, 23, v4
	s_mov_b32 s9, exec_lo
	s_delay_alu instid0(VALU_DEP_2) | instskip(NEXT) | instid1(VALU_DEP_1)
	v_cndmask_b32_e64 v5, v5, 0xffffff82, vcc_lo
	v_add3_u32 v17, v19, v5, v17
	v_and_b32_e32 v5, 0x1fffff, v16
                                        ; implicit-def: $vgpr16
	s_delay_alu instid0(VALU_DEP_1) | instskip(SKIP_1) | instid1(VALU_DEP_2)
	v_dual_add_nc_u32 v18, 14, v17 :: v_dual_add_nc_u32 v4, v5, v4
	v_mov_b32_e32 v5, v55
	v_cmpx_ne_u32_e32 0, v18
	s_xor_b32 s9, exec_lo, s9
; %bb.644:                              ;   in Loop: Header=BB2_130 Depth=3
	s_delay_alu instid0(VALU_DEP_2) | instskip(SKIP_2) | instid1(VALU_DEP_2)
	v_cmp_lt_u64_e32 vcc_lo, 0xffffff, v[4:5]
	v_add_nc_u32_e32 v16, 15, v17
	v_cndmask_b32_e64 v17, 0, 1, vcc_lo
	v_cndmask_b32_e32 v16, v18, v16, vcc_lo
	s_delay_alu instid0(VALU_DEP_2)
	v_lshrrev_b64 v[4:5], v17, v[4:5]
; %bb.645:                              ;   in Loop: Header=BB2_130 Depth=3
	s_and_not1_saveexec_b32 s9, s9
; %bb.646:                              ;   in Loop: Header=BB2_130 Depth=3
	s_delay_alu instid0(VALU_DEP_1)
	v_bfe_u32 v16, v4, 23, 1
; %bb.647:                              ;   in Loop: Header=BB2_130 Depth=3
	s_or_b32 exec_lo, exec_lo, s9
	s_delay_alu instid0(VALU_DEP_2) | instskip(NEXT) | instid1(VALU_DEP_2)
	v_lshrrev_b64 v[4:5], 21, v[4:5]
	v_cmp_gt_i32_e32 vcc_lo, 32, v16
	v_min_i32_e32 v17, 31, v16
	v_cmp_eq_u32_e64 s9, 0, v16
	s_delay_alu instid0(VALU_DEP_4) | instskip(NEXT) | instid1(VALU_DEP_3)
	v_cndmask_b32_e32 v5, 0, v5, vcc_lo
	v_dual_cndmask_b32 v4, 3, v4 :: v_dual_lshlrev_b32 v17, 2, v17
	s_delay_alu instid0(VALU_DEP_1) | instskip(NEXT) | instid1(VALU_DEP_2)
	v_and_b32_e32 v17, 0xfc, v17
	v_cmp_eq_u64_e32 vcc_lo, 0, v[4:5]
	s_delay_alu instid0(VALU_DEP_2)
	v_and_or_b32 v4, v4, 3, v17
	s_and_b32 s9, s9, vcc_lo
	s_delay_alu instid0(VALU_DEP_1) | instid1(SALU_CYCLE_1)
	v_cndmask_b32_e64 v4, v4, 0, s9
	s_delay_alu instid0(VALU_DEP_1)
	v_or_b32_e32 v16, v4, v2
.LBB2_648:                              ;   in Loop: Header=BB2_130 Depth=3
	s_or_b32 exec_lo, exec_lo, s24
                                        ; implicit-def: $vgpr2
.LBB2_649:                              ;   in Loop: Header=BB2_130 Depth=3
	s_and_not1_saveexec_b32 s9, s23
; %bb.650:                              ;   in Loop: Header=BB2_130 Depth=3
	v_or_b32_e32 v16, 0x7b, v2
; %bb.651:                              ;   in Loop: Header=BB2_130 Depth=3
	s_or_b32 exec_lo, exec_lo, s9
                                        ; implicit-def: $vgpr78
                                        ; implicit-def: $vgpr4_vgpr5
                                        ; implicit-def: $vgpr2
.LBB2_652:                              ;   in Loop: Header=BB2_130 Depth=3
	s_and_not1_saveexec_b32 s9, s22
	s_cbranch_execz .LBB2_129
; %bb.653:                              ;   in Loop: Header=BB2_130 Depth=3
	s_mov_b32 s22, exec_lo
                                        ; implicit-def: $vgpr16
	v_cmpx_ne_u64_e32 0, v[4:5]
	s_xor_b32 s22, exec_lo, s22
; %bb.654:                              ;   in Loop: Header=BB2_130 Depth=3
	v_or_b32_e32 v16, 0x7f, v2
                                        ; implicit-def: $vgpr78
; %bb.655:                              ;   in Loop: Header=BB2_130 Depth=3
	s_and_not1_saveexec_b32 s22, s22
	s_cbranch_execz .LBB2_128
; %bb.656:                              ;   in Loop: Header=BB2_130 Depth=3
	v_cmp_lt_i32_e32 vcc_lo, -1, v78
	v_cndmask_b32_e32 v16, 0xfc, v58, vcc_lo
	s_branch .LBB2_128
.LBB2_657:                              ;   in Loop: Header=BB2_85 Depth=2
	s_or_b32 exec_lo, exec_lo, s21
	s_delay_alu instid0(SALU_CYCLE_1)
	s_or_b32 exec_lo, exec_lo, s20
	s_and_saveexec_b32 s9, s3
	s_cbranch_execz .LBB2_122
.LBB2_658:                              ;   in Loop: Header=BB2_85 Depth=2
	s_and_saveexec_b32 s20, s4
	s_delay_alu instid0(SALU_CYCLE_1)
	s_xor_b32 s20, exec_lo, s20
	s_cbranch_execz .LBB2_673
; %bb.659:                              ;   in Loop: Header=BB2_85 Depth=2
	s_and_saveexec_b32 s21, s5
	s_cbranch_execz .LBB2_672
; %bb.660:                              ;   in Loop: Header=BB2_85 Depth=2
	s_mov_b32 s23, exec_lo
	s_mov_b32 s22, exec_lo
	v_mbcnt_lo_u32_b32 v2, s23, 0
	global_wb scope:SCOPE_DEV
	s_wait_storecnt 0x0
	s_wait_loadcnt_dscnt 0x0
	global_inv scope:SCOPE_DEV
	v_cmpx_eq_u32_e32 0, v2
	s_cbranch_execz .LBB2_662
; %bb.661:                              ;   in Loop: Header=BB2_85 Depth=2
	s_bcnt1_i32_b32 s23, s23
	s_delay_alu instid0(SALU_CYCLE_1)
	v_dual_mov_b32 v5, v55 :: v_dual_mov_b32 v4, s23
	s_wait_loadcnt 0x0
	ds_add_u64 v0, v[4:5]
	s_trap 2
.LBB2_662:                              ;   in Loop: Header=BB2_85 Depth=2
	s_or_b32 exec_lo, exec_lo, s22
	s_trap 2
	ds_load_b64 v[4:5], v0
	s_wait_dscnt 0x0
	v_add_nc_u64_e32 v[52:53], v[52:53], v[82:83]
	s_mov_b32 s22, exec_lo
	s_delay_alu instid0(VALU_DEP_1)
	v_cmpx_lt_u64_e64 v[4:5], v[52:53]
	s_cbranch_execz .LBB2_671
; %bb.663:                              ;   in Loop: Header=BB2_85 Depth=2
	s_mov_b32 s23, 0
	s_mov_b32 s26, 0
                                        ; implicit-def: $sgpr24
                                        ; implicit-def: $sgpr25
	s_branch .LBB2_665
.LBB2_664:                              ;   in Loop: Header=BB2_665 Depth=3
	s_or_b32 exec_lo, exec_lo, s28
	s_delay_alu instid0(SALU_CYCLE_1) | instskip(NEXT) | instid1(SALU_CYCLE_1)
	s_and_b32 s27, exec_lo, s29
	s_or_b32 s23, s27, s23
	s_and_not1_b32 s24, s24, exec_lo
	s_and_b32 s27, s25, exec_lo
	s_delay_alu instid0(SALU_CYCLE_1)
	s_or_b32 s24, s24, s27
	s_and_not1_b32 exec_lo, exec_lo, s23
	s_cbranch_execz .LBB2_669
.LBB2_665:                              ;   Parent Loop BB2_36 Depth=1
                                        ;     Parent Loop BB2_85 Depth=2
                                        ; =>    This Inner Loop Header: Depth=3
	s_add_co_i32 s26, s26, 1
	s_delay_alu instid0(SALU_CYCLE_1) | instskip(SKIP_1) | instid1(SALU_CYCLE_1)
	s_cmp_lg_u32 s26, 0x2710
	s_cselect_b32 s27, -1, 0
	s_and_b32 vcc_lo, exec_lo, s27
	s_cbranch_vccz .LBB2_667
; %bb.666:                              ;   in Loop: Header=BB2_665 Depth=3
	s_mov_b32 s29, -1
	s_or_b32 s25, s25, exec_lo
	s_and_saveexec_b32 s28, s27
	s_cbranch_execz .LBB2_664
	s_branch .LBB2_668
.LBB2_667:                              ;   in Loop: Header=BB2_665 Depth=3
	s_trap 2
	ds_load_b64 v[4:5], v0
	s_and_not1_b32 s27, s27, exec_lo
	s_mov_b32 s26, 0
	s_wait_loadcnt_dscnt 0x0
	flat_load_b32 v2, v[4:5] scope:SCOPE_SYS
	s_wait_loadcnt_dscnt 0x0
	global_inv scope:SCOPE_SYS
	v_cmp_eq_u32_e32 vcc_lo, 0, v2
	s_and_b32 s28, vcc_lo, exec_lo
	s_delay_alu instid0(SALU_CYCLE_1)
	s_or_b32 s27, s27, s28
	s_mov_b32 s29, -1
	s_or_b32 s25, s25, exec_lo
	s_and_saveexec_b32 s28, s27
	s_cbranch_execz .LBB2_664
.LBB2_668:                              ;   in Loop: Header=BB2_665 Depth=3
	s_sleep 1
	s_trap 2
	ds_load_b64 v[4:5], v0
	s_wait_dscnt 0x0
	s_and_not1_b32 s25, s25, exec_lo
	v_cmp_ge_u64_e32 vcc_lo, v[4:5], v[52:53]
	s_or_not1_b32 s29, vcc_lo, exec_lo
	s_branch .LBB2_664
.LBB2_669:                              ;   in Loop: Header=BB2_85 Depth=2
	s_or_b32 exec_lo, exec_lo, s23
	s_and_saveexec_b32 s23, s24
	s_delay_alu instid0(SALU_CYCLE_1)
	s_xor_b32 s23, exec_lo, s23
	s_cbranch_execz .LBB2_671
; %bb.670:                              ;   in Loop: Header=BB2_85 Depth=2
	ds_store_b32 v0, v1
	s_trap 2
.LBB2_671:                              ;   in Loop: Header=BB2_85 Depth=2
	s_or_b32 exec_lo, exec_lo, s22
	;;#ASMSTART
	s_wakeup
	;;#ASMEND
.LBB2_672:                              ;   in Loop: Header=BB2_85 Depth=2
	s_or_b32 exec_lo, exec_lo, s21
.LBB2_673:                              ;   in Loop: Header=BB2_85 Depth=2
	s_and_not1_saveexec_b32 s20, s20
	s_cbranch_execz .LBB2_675
; %bb.674:                              ;   in Loop: Header=BB2_85 Depth=2
	global_wb scope:SCOPE_DEV
	s_wait_storecnt 0x0
	s_wait_loadcnt_dscnt 0x0
	global_inv scope:SCOPE_DEV
	s_barrier_signal -1
	s_barrier_wait -1
.LBB2_675:                              ;   in Loop: Header=BB2_85 Depth=2
	s_or_b32 exec_lo, exec_lo, s20
	s_delay_alu instid0(SALU_CYCLE_1)
	s_or_b32 exec_lo, exec_lo, s9
	s_and_saveexec_b32 s9, s7
	s_cbranch_execnz .LBB2_123
	s_branch .LBB2_124
.LBB2_676:                              ;   in Loop: Header=BB2_36 Depth=1
	s_delay_alu instid0(VALU_DEP_1)
	v_mov_b64_e32 v[16:17], v[114:115]
	s_and_saveexec_b32 s9, s8
	s_cbranch_execnz .LBB2_679
; %bb.677:                              ;   in Loop: Header=BB2_36 Depth=1
	s_or_b32 exec_lo, exec_lo, s9
	s_and_saveexec_b32 s8, s3
	s_cbranch_execnz .LBB2_1228
.LBB2_678:                              ;   in Loop: Header=BB2_36 Depth=1
	s_or_b32 exec_lo, exec_lo, s8
	s_and_saveexec_b32 s8, s7
	s_cbranch_execz .LBB2_35
	s_branch .LBB2_1246
.LBB2_679:                              ;   in Loop: Header=BB2_36 Depth=1
	flat_load_b32 v4, v[22:23]
	v_add_nc_u64_e32 v[2:3], v[10:11], v[112:113]
	v_dual_mov_b32 v116, v0 :: v_dual_bitop2_b32 v5, 7, v34 bitop3:0x40
	s_mov_b32 s19, 0
	v_add_nc_u32_e32 v42, 1, v34
	s_wait_loadcnt_dscnt 0x0
	s_delay_alu instid0(VALU_DEP_3) | instskip(SKIP_1) | instid1(VALU_DEP_2)
	v_mad_nc_u64_u32 v[2:3], v68, v4, v[2:3]
	v_ashrrev_i32_e32 v18, 31, v4
	v_mad_u32 v3, v69, v4, v3
	v_mul_lo_u32 v4, v5, s16
	s_delay_alu instid0(VALU_DEP_2) | instskip(NEXT) | instid1(VALU_DEP_2)
	v_mad_u32 v3, v68, v18, v3
	v_ashrrev_i32_e32 v5, 31, v4
	v_add_nc_u64_e32 v[18:19], v[8:9], v[112:113]
	s_delay_alu instid0(VALU_DEP_2) | instskip(NEXT) | instid1(VALU_DEP_4)
	v_lshl_add_u64 v[114:115], v[4:5], 4, v[32:33]
	v_add_nc_u64_e32 v[112:113], v[2:3], v[84:85]
	s_branch .LBB2_681
.LBB2_680:                              ;   in Loop: Header=BB2_681 Depth=2
	v_sub_nc_u32_e32 v60, v60, v86
	v_add_nc_u64_e32 v[112:113], v[112:113], v[86:87]
	s_wait_xcnt 0x0
	v_add_nc_u64_e32 v[18:19], v[18:19], v[86:87]
	v_add_nc_u32_e32 v116, v116, v20
	v_cmp_gt_i32_e32 vcc_lo, 1, v60
	s_or_b32 s19, vcc_lo, s19
	s_delay_alu instid0(SALU_CYCLE_1)
	s_and_not1_b32 exec_lo, exec_lo, s19
	s_cbranch_execz .LBB2_1227
.LBB2_681:                              ;   Parent Loop BB2_36 Depth=1
                                        ; =>  This Loop Header: Depth=2
                                        ;       Child Loop BB2_689 Depth 3
	s_delay_alu instid0(VALU_DEP_1)
	v_dual_mov_b32 v3, v113 :: v_dual_bitop2_b32 v2, -4, v112 bitop3:0x40
	v_min_u32_e32 v4, 8, v60
	v_dual_mov_b32 v45, 0 :: v_dual_bitop2_b32 v5, 3, v112 bitop3:0x40
	v_mov_b32_e32 v46, 0
	global_load_b32 v30, v[2:3], off th:TH_LOAD_NT
	s_mov_b32 s8, exec_lo
	v_add_nc_u32_e32 v54, v5, v4
	s_wait_xcnt 0x0
	s_delay_alu instid0(VALU_DEP_1)
	v_cmpx_lt_u32_e32 4, v54
	s_cbranch_execz .LBB2_683
; %bb.682:                              ;   in Loop: Header=BB2_681 Depth=2
	global_load_b32 v46, v[2:3], off offset:4 th:TH_LOAD_NT
.LBB2_683:                              ;   in Loop: Header=BB2_681 Depth=2
	s_wait_xcnt 0x0
	s_or_b32 exec_lo, exec_lo, s8
	s_delay_alu instid0(SALU_CYCLE_1)
	s_mov_b32 s8, exec_lo
	v_cmpx_lt_u64_e32 8, v[54:55]
	s_cbranch_execz .LBB2_685
; %bb.684:                              ;   in Loop: Header=BB2_681 Depth=2
	global_load_b32 v45, v[2:3], off offset:8 th:TH_LOAD_NT
.LBB2_685:                              ;   in Loop: Header=BB2_681 Depth=2
	s_wait_xcnt 0x0
	s_or_b32 exec_lo, exec_lo, s8
	v_mov_b32_e32 v117, v55
	v_cmp_eq_u32_e32 vcc_lo, 0, v59
	v_mov_b32_e32 v59, 1
	s_delay_alu instid0(VALU_DEP_3)
	v_lshl_add_u64 v[118:119], v[116:117], 4, v[114:115]
	global_load_b128 v[2:5], v[118:119], off th:TH_LOAD_NT
	s_wait_xcnt 0x0
	s_and_saveexec_b32 s20, vcc_lo
	s_cbranch_execz .LBB2_697
; %bb.686:                              ;   in Loop: Header=BB2_681 Depth=2
	s_wait_loadcnt 0x0
	v_cmp_ne_u32_e32 vcc_lo, v42, v3
	v_cmp_ne_u32_e64 s8, v42, v5
	v_mov_b32_e32 v59, 0
	s_or_b32 s8, vcc_lo, s8
	s_delay_alu instid0(SALU_CYCLE_1)
	s_and_saveexec_b32 s21, s8
	s_cbranch_execz .LBB2_696
; %bb.687:                              ;   in Loop: Header=BB2_681 Depth=2
	s_mov_b32 s25, 1
	s_mov_b32 s23, 0
                                        ; implicit-def: $sgpr22
                                        ; implicit-def: $sgpr24
	s_branch .LBB2_689
.LBB2_688:                              ;   in Loop: Header=BB2_689 Depth=3
	s_or_b32 exec_lo, exec_lo, s27
	s_delay_alu instid0(SALU_CYCLE_1) | instskip(NEXT) | instid1(SALU_CYCLE_1)
	s_and_b32 s8, exec_lo, s8
	s_or_b32 s23, s8, s23
	s_and_not1_b32 s8, s22, exec_lo
	s_and_b32 s22, s24, exec_lo
	s_delay_alu instid0(SALU_CYCLE_1)
	s_or_b32 s22, s8, s22
	s_and_not1_b32 exec_lo, exec_lo, s23
	s_cbranch_execz .LBB2_693
.LBB2_689:                              ;   Parent Loop BB2_36 Depth=1
                                        ;     Parent Loop BB2_681 Depth=2
                                        ; =>    This Inner Loop Header: Depth=3
	s_wait_loadcnt 0x0
	global_load_b128 v[2:5], v[118:119], off th:TH_LOAD_NT
	s_add_co_i32 s25, s25, 1
	s_mov_b32 s8, -1
	s_cmp_lg_u32 s25, 0x2710
	s_mov_b32 s26, -1
                                        ; implicit-def: $vgpr54
	s_cbranch_scc0 .LBB2_691
; %bb.690:                              ;   in Loop: Header=BB2_689 Depth=3
	s_or_b32 s24, s24, exec_lo
	s_wait_xcnt 0x0
	s_and_saveexec_b32 s27, s26
	s_cbranch_execz .LBB2_688
	s_branch .LBB2_692
.LBB2_691:                              ;   in Loop: Header=BB2_689 Depth=3
	s_trap 2
	ds_load_b64 v[40:41], v0
	s_mov_b32 s25, 0
	s_wait_storecnt 0x0
	s_wait_loadcnt_dscnt 0x0
	flat_load_b32 v54, v[40:41] scope:SCOPE_SYS
	s_wait_loadcnt_dscnt 0x0
	global_inv scope:SCOPE_SYS
	v_cmp_eq_u32_e32 vcc_lo, 0, v54
	s_or_not1_b32 s26, vcc_lo, exec_lo
	s_or_b32 s24, s24, exec_lo
	s_wait_xcnt 0x0
	s_and_saveexec_b32 s27, s26
	s_cbranch_execz .LBB2_688
.LBB2_692:                              ;   in Loop: Header=BB2_689 Depth=3
	s_wait_loadcnt 0x0
	v_cmp_eq_u32_e32 vcc_lo, v42, v3
	v_cmp_eq_u32_e64 s8, v42, v5
	s_and_not1_b32 s24, s24, exec_lo
	s_and_b32 s8, vcc_lo, s8
	s_delay_alu instid0(SALU_CYCLE_1)
	s_or_not1_b32 s8, s8, exec_lo
	s_branch .LBB2_688
.LBB2_693:                              ;   in Loop: Header=BB2_681 Depth=2
	s_or_b32 exec_lo, exec_lo, s23
	v_mov_b32_e32 v59, 0
	s_and_saveexec_b32 s8, s22
	s_delay_alu instid0(SALU_CYCLE_1)
	s_xor_b32 s8, exec_lo, s8
	s_cbranch_execz .LBB2_695
; %bb.694:                              ;   in Loop: Header=BB2_681 Depth=2
	v_mov_b32_e32 v59, 1
	s_wait_loadcnt 0x0
	s_wait_storecnt 0x0
	ds_store_b32 v0, v54
	s_trap 2
.LBB2_695:                              ;   in Loop: Header=BB2_681 Depth=2
	s_or_b32 exec_lo, exec_lo, s8
.LBB2_696:                              ;   in Loop: Header=BB2_681 Depth=2
	s_delay_alu instid0(SALU_CYCLE_1)
	s_or_b32 exec_lo, exec_lo, s21
.LBB2_697:                              ;   in Loop: Header=BB2_681 Depth=2
	s_delay_alu instid0(SALU_CYCLE_1) | instskip(SKIP_4) | instid1(VALU_DEP_3)
	s_or_b32 exec_lo, exec_lo, s20
	v_lshlrev_b32_e32 v61, 3, v112
	s_wait_loadcnt 0x0
	v_and_b32_e32 v117, 0xff, v2
	v_bfe_i32 v119, v2, 0, 8
                                        ; implicit-def: $vgpr40
	v_alignbit_b32 v54, v46, v30, v61
	s_delay_alu instid0(VALU_DEP_3) | instskip(NEXT) | instid1(VALU_DEP_2)
	v_cmp_ne_u16_e32 vcc_lo, 0, v117
	v_bfe_i32 v30, v54, 0, 8
	s_and_saveexec_b32 s8, s6
	s_delay_alu instid0(SALU_CYCLE_1)
	s_xor_b32 s20, exec_lo, s8
	s_cbranch_execz .LBB2_719
; %bb.698:                              ;   in Loop: Header=BB2_681 Depth=2
	v_dual_mov_b32 v118, 0 :: v_dual_mov_b32 v117, 0
	s_and_saveexec_b32 s21, vcc_lo
	s_cbranch_execz .LBB2_708
; %bb.699:                              ;   in Loop: Header=BB2_681 Depth=2
	v_bfrev_b32_e32 v117, 1
	s_mov_b32 s22, exec_lo
	v_cmpx_ne_u16_e32 0xff80, v119
	s_cbranch_execz .LBB2_707
; %bb.700:                              ;   in Loop: Header=BB2_681 Depth=2
	v_and_b32_e32 v117, 0x7c, v2
	v_and_b32_e32 v40, 3, v2
	s_delay_alu instid0(VALU_DEP_2) | instskip(SKIP_1) | instid1(SALU_CYCLE_1)
	v_cmp_ne_u32_e64 s8, 0x7c, v117
                                        ; implicit-def: $vgpr117
	s_and_saveexec_b32 s23, s8
	s_xor_b32 s23, exec_lo, s23
	s_cbranch_execz .LBB2_704
; %bb.701:                              ;   in Loop: Header=BB2_681 Depth=2
	v_bfe_u32 v117, v2, 2, 5
	s_mov_b32 s24, exec_lo
	s_delay_alu instid0(VALU_DEP_1)
	v_cmpx_eq_u32_e32 0, v117
; %bb.702:                              ;   in Loop: Header=BB2_681 Depth=2
	v_clz_i32_u32_e32 v117, v40
	s_delay_alu instid0(VALU_DEP_1) | instskip(NEXT) | instid1(VALU_DEP_1)
	v_min_u32_e32 v117, 32, v117
	v_subrev_nc_u32_e32 v119, 29, v117
	s_delay_alu instid0(VALU_DEP_1) | instskip(NEXT) | instid1(VALU_DEP_1)
	v_lshlrev_b64_e32 v[40:41], v119, v[2:3]
	v_dual_sub_nc_u32 v117, 30, v117 :: v_dual_bitop2_b32 v40, 3, v40 bitop3:0x40
; %bb.703:                              ;   in Loop: Header=BB2_681 Depth=2
	s_or_b32 exec_lo, exec_lo, s24
	v_lshlrev_b32_e32 v119, 24, v2
	s_delay_alu instid0(VALU_DEP_1) | instskip(NEXT) | instid1(VALU_DEP_1)
	v_and_b32_e32 v119, 0x80000000, v119
	v_lshl_add_u32 v117, v117, 23, v119
                                        ; implicit-def: $vgpr119
	s_delay_alu instid0(VALU_DEP_1) | instskip(NEXT) | instid1(VALU_DEP_1)
	v_lshl_or_b32 v117, v40, 21, v117
                                        ; implicit-def: $vgpr40
	v_add_nc_u32_e32 v117, 0x38000000, v117
.LBB2_704:                              ;   in Loop: Header=BB2_681 Depth=2
	s_and_not1_saveexec_b32 s23, s23
; %bb.705:                              ;   in Loop: Header=BB2_681 Depth=2
	v_cmp_lt_i16_e64 s8, -1, v119
	s_delay_alu instid0(VALU_DEP_1) | instskip(SKIP_1) | instid1(VALU_DEP_1)
	v_cndmask_b32_e64 v117, 0xff800000, v21, s8
	v_cmp_eq_u32_e64 s8, 0, v40
	v_cndmask_b32_e64 v117, 0x7f800001, v117, s8
; %bb.706:                              ;   in Loop: Header=BB2_681 Depth=2
	s_or_b32 exec_lo, exec_lo, s23
.LBB2_707:                              ;   in Loop: Header=BB2_681 Depth=2
	s_delay_alu instid0(SALU_CYCLE_1)
	s_or_b32 exec_lo, exec_lo, s22
.LBB2_708:                              ;   in Loop: Header=BB2_681 Depth=2
	s_delay_alu instid0(SALU_CYCLE_1) | instskip(NEXT) | instid1(SALU_CYCLE_1)
	s_or_b32 exec_lo, exec_lo, s21
	s_mov_b32 s21, exec_lo
	v_cmpx_ne_u16_e32 0, v30
	s_cbranch_execz .LBB2_718
; %bb.709:                              ;   in Loop: Header=BB2_681 Depth=2
	v_bfrev_b32_e32 v118, 1
	s_mov_b32 s22, exec_lo
	v_cmpx_ne_u16_e32 0xff80, v30
	s_cbranch_execz .LBB2_717
; %bb.710:                              ;   in Loop: Header=BB2_681 Depth=2
	v_and_b32_e32 v118, 0x7c, v54
	v_and_b32_e32 v119, 3, v54
	s_delay_alu instid0(VALU_DEP_2) | instskip(SKIP_1) | instid1(SALU_CYCLE_1)
	v_cmp_ne_u32_e64 s8, 0x7c, v118
                                        ; implicit-def: $vgpr118
	s_and_saveexec_b32 s23, s8
	s_xor_b32 s23, exec_lo, s23
	s_cbranch_execz .LBB2_714
; %bb.711:                              ;   in Loop: Header=BB2_681 Depth=2
	v_bfe_u32 v30, v54, 2, 5
	s_mov_b32 s24, exec_lo
	s_delay_alu instid0(VALU_DEP_1)
	v_cmpx_eq_u32_e32 0, v30
; %bb.712:                              ;   in Loop: Header=BB2_681 Depth=2
	v_clz_i32_u32_e32 v30, v119
	s_delay_alu instid0(VALU_DEP_1) | instskip(NEXT) | instid1(VALU_DEP_1)
	v_min_u32_e32 v30, 32, v30
	v_subrev_nc_u32_e32 v118, 29, v30
	v_sub_nc_u32_e32 v30, 30, v30
	s_delay_alu instid0(VALU_DEP_2) | instskip(NEXT) | instid1(VALU_DEP_1)
	v_lshlrev_b64_e32 v[118:119], v118, v[54:55]
	v_and_b32_e32 v119, 3, v118
; %bb.713:                              ;   in Loop: Header=BB2_681 Depth=2
	s_or_b32 exec_lo, exec_lo, s24
	v_lshlrev_b32_e32 v118, 24, v54
	s_delay_alu instid0(VALU_DEP_1) | instskip(NEXT) | instid1(VALU_DEP_1)
	v_and_b32_e32 v118, 0x80000000, v118
	v_lshl_add_u32 v30, v30, 23, v118
	s_delay_alu instid0(VALU_DEP_1) | instskip(NEXT) | instid1(VALU_DEP_1)
	v_lshl_or_b32 v30, v119, 21, v30
                                        ; implicit-def: $vgpr119
	v_add_nc_u32_e32 v118, 0x38000000, v30
                                        ; implicit-def: $vgpr30
.LBB2_714:                              ;   in Loop: Header=BB2_681 Depth=2
	s_and_not1_saveexec_b32 s23, s23
; %bb.715:                              ;   in Loop: Header=BB2_681 Depth=2
	v_cmp_lt_i16_e64 s8, -1, v30
	s_delay_alu instid0(VALU_DEP_1) | instskip(SKIP_1) | instid1(VALU_DEP_1)
	v_cndmask_b32_e64 v30, 0xff800000, v21, s8
	v_cmp_eq_u32_e64 s8, 0, v119
	v_cndmask_b32_e64 v118, 0x7f800001, v30, s8
; %bb.716:                              ;   in Loop: Header=BB2_681 Depth=2
	s_or_b32 exec_lo, exec_lo, s23
.LBB2_717:                              ;   in Loop: Header=BB2_681 Depth=2
	s_delay_alu instid0(SALU_CYCLE_1)
	s_or_b32 exec_lo, exec_lo, s22
.LBB2_718:                              ;   in Loop: Header=BB2_681 Depth=2
	s_delay_alu instid0(SALU_CYCLE_1) | instskip(NEXT) | instid1(VALU_DEP_1)
	s_or_b32 exec_lo, exec_lo, s21
	v_dual_max_num_f32 v30, v118, v118 :: v_dual_max_num_f32 v117, v117, v117
                                        ; implicit-def: $vgpr119
	s_delay_alu instid0(VALU_DEP_1)
	v_max_num_f32_e32 v40, v117, v30
                                        ; implicit-def: $vgpr30
.LBB2_719:                              ;   in Loop: Header=BB2_681 Depth=2
	s_and_not1_saveexec_b32 s8, s20
	s_cbranch_execz .LBB2_741
; %bb.720:                              ;   in Loop: Header=BB2_681 Depth=2
	v_dual_mov_b32 v118, 0 :: v_dual_mov_b32 v117, 0
	s_and_saveexec_b32 s20, vcc_lo
	s_cbranch_execz .LBB2_730
; %bb.721:                              ;   in Loop: Header=BB2_681 Depth=2
	v_bfrev_b32_e32 v117, 1
	s_mov_b32 s21, exec_lo
	v_cmpx_ne_u16_e32 0xff80, v119
	s_cbranch_execz .LBB2_729
; %bb.722:                              ;   in Loop: Header=BB2_681 Depth=2
	v_and_b32_e32 v117, 0x7c, v2
	v_and_b32_e32 v40, 3, v2
	s_delay_alu instid0(VALU_DEP_2) | instskip(SKIP_1) | instid1(SALU_CYCLE_1)
	v_cmp_ne_u32_e32 vcc_lo, 0x7c, v117
                                        ; implicit-def: $vgpr117
	s_and_saveexec_b32 s22, vcc_lo
	s_xor_b32 s22, exec_lo, s22
	s_cbranch_execz .LBB2_726
; %bb.723:                              ;   in Loop: Header=BB2_681 Depth=2
	v_bfe_u32 v117, v2, 2, 5
	s_mov_b32 s23, exec_lo
	s_delay_alu instid0(VALU_DEP_1)
	v_cmpx_eq_u32_e32 0, v117
; %bb.724:                              ;   in Loop: Header=BB2_681 Depth=2
	v_clz_i32_u32_e32 v117, v40
	s_delay_alu instid0(VALU_DEP_1) | instskip(NEXT) | instid1(VALU_DEP_1)
	v_min_u32_e32 v117, 32, v117
	v_subrev_nc_u32_e32 v119, 29, v117
	s_delay_alu instid0(VALU_DEP_1) | instskip(NEXT) | instid1(VALU_DEP_1)
	v_lshlrev_b64_e32 v[40:41], v119, v[2:3]
	v_dual_sub_nc_u32 v117, 30, v117 :: v_dual_bitop2_b32 v40, 3, v40 bitop3:0x40
; %bb.725:                              ;   in Loop: Header=BB2_681 Depth=2
	s_or_b32 exec_lo, exec_lo, s23
	v_lshlrev_b32_e32 v3, 24, v2
                                        ; implicit-def: $vgpr119
	s_delay_alu instid0(VALU_DEP_1) | instskip(NEXT) | instid1(VALU_DEP_1)
	v_and_b32_e32 v3, 0x80000000, v3
	v_lshl_add_u32 v3, v117, 23, v3
	s_delay_alu instid0(VALU_DEP_1) | instskip(NEXT) | instid1(VALU_DEP_1)
	v_lshl_or_b32 v3, v40, 21, v3
                                        ; implicit-def: $vgpr40
	v_add_nc_u32_e32 v117, 0x38000000, v3
.LBB2_726:                              ;   in Loop: Header=BB2_681 Depth=2
	s_and_not1_saveexec_b32 s22, s22
; %bb.727:                              ;   in Loop: Header=BB2_681 Depth=2
	v_cmp_lt_i16_e32 vcc_lo, -1, v119
	v_cndmask_b32_e32 v3, 0xff800000, v21, vcc_lo
	v_cmp_eq_u32_e32 vcc_lo, 0, v40
	s_delay_alu instid0(VALU_DEP_2)
	v_cndmask_b32_e32 v117, 0x7f800001, v3, vcc_lo
; %bb.728:                              ;   in Loop: Header=BB2_681 Depth=2
	s_or_b32 exec_lo, exec_lo, s22
.LBB2_729:                              ;   in Loop: Header=BB2_681 Depth=2
	s_delay_alu instid0(SALU_CYCLE_1)
	s_or_b32 exec_lo, exec_lo, s21
.LBB2_730:                              ;   in Loop: Header=BB2_681 Depth=2
	s_delay_alu instid0(SALU_CYCLE_1) | instskip(NEXT) | instid1(SALU_CYCLE_1)
	s_or_b32 exec_lo, exec_lo, s20
	s_mov_b32 s20, exec_lo
	v_cmpx_ne_u16_e32 0, v30
	s_cbranch_execz .LBB2_740
; %bb.731:                              ;   in Loop: Header=BB2_681 Depth=2
	v_bfrev_b32_e32 v118, 1
	s_mov_b32 s21, exec_lo
	v_cmpx_ne_u16_e32 0xff80, v30
	s_cbranch_execz .LBB2_739
; %bb.732:                              ;   in Loop: Header=BB2_681 Depth=2
	v_and_b32_e32 v118, 0x7c, v54
	v_and_b32_e32 v3, 3, v54
	s_delay_alu instid0(VALU_DEP_2) | instskip(SKIP_1) | instid1(SALU_CYCLE_1)
	v_cmp_ne_u32_e32 vcc_lo, 0x7c, v118
                                        ; implicit-def: $vgpr118
	s_and_saveexec_b32 s22, vcc_lo
	s_xor_b32 s22, exec_lo, s22
	s_cbranch_execz .LBB2_736
; %bb.733:                              ;   in Loop: Header=BB2_681 Depth=2
	v_bfe_u32 v30, v54, 2, 5
	s_mov_b32 s23, exec_lo
	s_delay_alu instid0(VALU_DEP_1)
	v_cmpx_eq_u32_e32 0, v30
; %bb.734:                              ;   in Loop: Header=BB2_681 Depth=2
	v_clz_i32_u32_e32 v3, v3
	s_delay_alu instid0(VALU_DEP_1) | instskip(NEXT) | instid1(VALU_DEP_1)
	v_min_u32_e32 v3, 32, v3
	v_subrev_nc_u32_e32 v30, 29, v3
	s_delay_alu instid0(VALU_DEP_1) | instskip(NEXT) | instid1(VALU_DEP_1)
	v_lshlrev_b64_e32 v[118:119], v30, v[54:55]
	v_dual_sub_nc_u32 v30, 30, v3 :: v_dual_bitop2_b32 v3, 3, v118 bitop3:0x40
; %bb.735:                              ;   in Loop: Header=BB2_681 Depth=2
	s_or_b32 exec_lo, exec_lo, s23
	v_lshlrev_b32_e32 v118, 24, v54
	s_delay_alu instid0(VALU_DEP_1) | instskip(NEXT) | instid1(VALU_DEP_1)
	v_and_b32_e32 v118, 0x80000000, v118
	v_lshl_add_u32 v30, v30, 23, v118
	s_delay_alu instid0(VALU_DEP_1) | instskip(NEXT) | instid1(VALU_DEP_1)
	v_lshl_or_b32 v3, v3, 21, v30
                                        ; implicit-def: $vgpr30
	v_add_nc_u32_e32 v118, 0x38000000, v3
                                        ; implicit-def: $vgpr3
.LBB2_736:                              ;   in Loop: Header=BB2_681 Depth=2
	s_and_not1_saveexec_b32 s22, s22
; %bb.737:                              ;   in Loop: Header=BB2_681 Depth=2
	v_cmp_lt_i16_e32 vcc_lo, -1, v30
	v_cndmask_b32_e32 v30, 0xff800000, v21, vcc_lo
	v_cmp_eq_u32_e32 vcc_lo, 0, v3
	s_delay_alu instid0(VALU_DEP_2)
	v_cndmask_b32_e32 v118, 0x7f800001, v30, vcc_lo
; %bb.738:                              ;   in Loop: Header=BB2_681 Depth=2
	s_or_b32 exec_lo, exec_lo, s22
.LBB2_739:                              ;   in Loop: Header=BB2_681 Depth=2
	s_delay_alu instid0(SALU_CYCLE_1)
	s_or_b32 exec_lo, exec_lo, s21
.LBB2_740:                              ;   in Loop: Header=BB2_681 Depth=2
	s_delay_alu instid0(SALU_CYCLE_1) | instskip(NEXT) | instid1(VALU_DEP_1)
	s_or_b32 exec_lo, exec_lo, s20
	v_dual_max_num_f32 v3, v118, v118 :: v_dual_max_num_f32 v30, v117, v117
	s_delay_alu instid0(VALU_DEP_1)
	v_min_num_f32_e32 v40, v30, v3
.LBB2_741:                              ;   in Loop: Header=BB2_681 Depth=2
	s_or_b32 exec_lo, exec_lo, s8
	s_delay_alu instid0(VALU_DEP_1) | instskip(SKIP_4) | instid1(VALU_DEP_3)
	v_and_b32_e32 v62, 0x7f800000, v40
	v_dual_mov_b32 v63, v55 :: v_dual_mov_b32 v119, v55
	v_and_b32_e32 v118, 0x7fffff, v40
	v_lshrrev_b32_e32 v3, 24, v40
                                        ; implicit-def: $vgpr117
	s_mov_b32 s8, exec_lo
	v_cmpx_ne_u64_e32 0x7f800000, v[62:63]
	s_xor_b32 s20, exec_lo, s8
	s_cbranch_execz .LBB2_755
; %bb.742:                              ;   in Loop: Header=BB2_681 Depth=2
	v_and_b32_e32 v62, 0x7fffffff, v40
	v_mov_b32_e32 v63, v55
	v_and_b32_e32 v3, 0x80, v3
                                        ; implicit-def: $vgpr117
	s_mov_b32 s8, exec_lo
	s_delay_alu instid0(VALU_DEP_2)
	v_cmpx_gt_u64_e32 0x47600001, v[62:63]
	s_xor_b32 s21, exec_lo, s8
	s_cbranch_execz .LBB2_752
; %bb.743:                              ;   in Loop: Header=BB2_681 Depth=2
	v_mov_b32_e32 v117, 0
	s_mov_b32 s22, exec_lo
	v_cmpx_ne_u32_e32 0, v40
	s_cbranch_execz .LBB2_751
; %bb.744:                              ;   in Loop: Header=BB2_681 Depth=2
	v_bfe_u32 v30, v40, 23, 8
	v_or_b32_e32 v43, 0x800000, v118
	s_delay_alu instid0(VALU_DEP_2) | instskip(SKIP_1) | instid1(VALU_DEP_2)
	v_sub_nc_u32_e32 v117, 0x71, v30
	v_cmp_gt_u32_e32 vcc_lo, 0x72, v30
	v_cndmask_b32_e32 v117, 0, v117, vcc_lo
	v_cmp_eq_u32_e32 vcc_lo, 0, v30
	v_cndmask_b32_e32 v118, v43, v118, vcc_lo
	s_delay_alu instid0(VALU_DEP_3) | instskip(NEXT) | instid1(VALU_DEP_1)
	v_cndmask_b32_e64 v117, v117, 0x70, vcc_lo
	v_dual_add_nc_u32 v40, 21, v117 :: v_dual_add_nc_u32 v44, 20, v117
	s_delay_alu instid0(VALU_DEP_1) | instskip(NEXT) | instid1(VALU_DEP_2)
	v_lshlrev_b64_e64 v[40:41], v40, -1
	v_lshlrev_b64_e64 v[62:63], v44, 1
	s_delay_alu instid0(VALU_DEP_2) | instskip(SKIP_1) | instid1(VALU_DEP_4)
	v_bfi_b32 v40, v40, 0, v118
	v_lshrrev_b64 v[118:119], v117, v[118:119]
	v_bfi_b32 v41, v41, 0, 0
	s_delay_alu instid0(VALU_DEP_1) | instskip(NEXT) | instid1(VALU_DEP_3)
	v_cmp_eq_u64_e64 s8, v[40:41], v[62:63]
	v_mov_b64_e32 v[40:41], v[118:119]
	s_and_saveexec_b32 s23, s8
; %bb.745:                              ;   in Loop: Header=BB2_681 Depth=2
	v_bfe_u32 v40, v118, 21, 1
	v_mov_b32_e32 v41, v55
	s_delay_alu instid0(VALU_DEP_1) | instskip(NEXT) | instid1(VALU_DEP_1)
	v_add_nc_u64_e32 v[40:41], v[118:119], v[40:41]
	v_add_nc_u64_e32 v[40:41], -1, v[40:41]
; %bb.746:                              ;   in Loop: Header=BB2_681 Depth=2
	s_or_b32 exec_lo, exec_lo, s23
	v_add_nc_u32_e32 v30, 0xffffff81, v30
	v_lshrrev_b32_e32 v119, 23, v118
	s_mov_b32 s8, exec_lo
	s_delay_alu instid0(VALU_DEP_2) | instskip(NEXT) | instid1(VALU_DEP_1)
	v_cndmask_b32_e64 v30, v30, 0xffffff82, vcc_lo
	v_add3_u32 v117, v117, v30, v119
	v_and_b32_e32 v30, 0x1fffff, v40
	s_delay_alu instid0(VALU_DEP_2) | instskip(NEXT) | instid1(VALU_DEP_2)
	v_dual_mov_b32 v119, v55 :: v_dual_add_nc_u32 v40, 14, v117
	v_add_nc_u32_e32 v118, v30, v118
                                        ; implicit-def: $vgpr30
	s_delay_alu instid0(VALU_DEP_2)
	v_cmpx_ne_u32_e32 0, v40
	s_xor_b32 s8, exec_lo, s8
; %bb.747:                              ;   in Loop: Header=BB2_681 Depth=2
	s_delay_alu instid0(VALU_DEP_2) | instskip(SKIP_2) | instid1(VALU_DEP_2)
	v_cmp_lt_u64_e32 vcc_lo, 0xffffff, v[118:119]
	v_add_nc_u32_e32 v30, 15, v117
	v_cndmask_b32_e64 v117, 0, 1, vcc_lo
	v_cndmask_b32_e32 v30, v40, v30, vcc_lo
	s_delay_alu instid0(VALU_DEP_2)
	v_lshrrev_b64 v[118:119], v117, v[118:119]
; %bb.748:                              ;   in Loop: Header=BB2_681 Depth=2
	s_and_not1_saveexec_b32 s8, s8
; %bb.749:                              ;   in Loop: Header=BB2_681 Depth=2
	s_delay_alu instid0(VALU_DEP_1)
	v_bfe_u32 v30, v118, 23, 1
; %bb.750:                              ;   in Loop: Header=BB2_681 Depth=2
	s_or_b32 exec_lo, exec_lo, s8
	s_delay_alu instid0(VALU_DEP_2) | instskip(NEXT) | instid1(VALU_DEP_2)
	v_lshrrev_b64 v[118:119], 21, v[118:119]
	v_cmp_gt_i32_e32 vcc_lo, 32, v30
	v_min_i32_e32 v117, 31, v30
	v_cmp_eq_u32_e64 s8, 0, v30
	s_delay_alu instid0(VALU_DEP_2) | instskip(SKIP_1) | instid1(VALU_DEP_2)
	v_dual_cndmask_b32 v119, 0, v119, vcc_lo :: v_dual_lshlrev_b32 v117, 2, v117
	v_cndmask_b32_e32 v118, 3, v118, vcc_lo
	v_and_b32_e32 v117, 0xfc, v117
	s_delay_alu instid0(VALU_DEP_2) | instskip(NEXT) | instid1(VALU_DEP_2)
	v_cmp_eq_u64_e32 vcc_lo, 0, v[118:119]
	v_and_or_b32 v30, v118, 3, v117
	s_and_b32 s8, s8, vcc_lo
	s_delay_alu instid0(VALU_DEP_1) | instid1(SALU_CYCLE_1)
	v_cndmask_b32_e64 v30, v30, 0, s8
	s_delay_alu instid0(VALU_DEP_1)
	v_or_b32_e32 v117, v30, v3
.LBB2_751:                              ;   in Loop: Header=BB2_681 Depth=2
	s_or_b32 exec_lo, exec_lo, s22
                                        ; implicit-def: $vgpr3
.LBB2_752:                              ;   in Loop: Header=BB2_681 Depth=2
	s_and_not1_saveexec_b32 s8, s21
; %bb.753:                              ;   in Loop: Header=BB2_681 Depth=2
	v_or_b32_e32 v117, 0x7b, v3
; %bb.754:                              ;   in Loop: Header=BB2_681 Depth=2
	s_or_b32 exec_lo, exec_lo, s8
                                        ; implicit-def: $vgpr40
                                        ; implicit-def: $vgpr118_vgpr119
                                        ; implicit-def: $vgpr3
.LBB2_755:                              ;   in Loop: Header=BB2_681 Depth=2
	s_and_not1_saveexec_b32 s8, s20
	s_cbranch_execz .LBB2_761
; %bb.756:                              ;   in Loop: Header=BB2_681 Depth=2
	s_mov_b32 s20, exec_lo
                                        ; implicit-def: $vgpr117
	v_cmpx_ne_u64_e32 0, v[118:119]
	s_xor_b32 s20, exec_lo, s20
; %bb.757:                              ;   in Loop: Header=BB2_681 Depth=2
	v_or_b32_e32 v117, 0x7f, v3
                                        ; implicit-def: $vgpr40
; %bb.758:                              ;   in Loop: Header=BB2_681 Depth=2
	s_and_not1_saveexec_b32 s20, s20
; %bb.759:                              ;   in Loop: Header=BB2_681 Depth=2
	v_cmp_lt_i32_e32 vcc_lo, -1, v40
	v_cndmask_b32_e32 v117, 0xfc, v58, vcc_lo
; %bb.760:                              ;   in Loop: Header=BB2_681 Depth=2
	s_or_b32 exec_lo, exec_lo, s20
.LBB2_761:                              ;   in Loop: Header=BB2_681 Depth=2
	s_delay_alu instid0(SALU_CYCLE_1) | instskip(SKIP_2) | instid1(VALU_DEP_2)
	s_or_b32 exec_lo, exec_lo, s8
	v_lshrrev_b16 v40, 8, v2
	v_lshrrev_b16 v118, 8, v54
                                        ; implicit-def: $vgpr30
	v_and_b32_e32 v119, 0xffff, v40
	v_cmp_ne_u16_e32 vcc_lo, 0, v40
	s_and_saveexec_b32 s8, s6
	s_delay_alu instid0(SALU_CYCLE_1)
	s_xor_b32 s20, exec_lo, s8
	s_cbranch_execz .LBB2_783
; %bb.762:                              ;   in Loop: Header=BB2_681 Depth=2
	v_dual_mov_b32 v30, 0 :: v_dual_mov_b32 v3, 0
	s_and_saveexec_b32 s21, vcc_lo
	s_cbranch_execz .LBB2_772
; %bb.763:                              ;   in Loop: Header=BB2_681 Depth=2
	v_bfrev_b32_e32 v3, 1
	s_mov_b32 s22, exec_lo
	v_cmpx_ne_u16_e32 0x80, v40
	s_cbranch_execz .LBB2_771
; %bb.764:                              ;   in Loop: Header=BB2_681 Depth=2
	v_and_b32_e32 v3, 0x7c, v119
	v_and_b32_e32 v41, 3, v119
	s_delay_alu instid0(VALU_DEP_2) | instskip(SKIP_1) | instid1(SALU_CYCLE_1)
	v_cmp_ne_u32_e64 s8, 0x7c, v3
                                        ; implicit-def: $vgpr3
	s_and_saveexec_b32 s23, s8
	s_xor_b32 s23, exec_lo, s23
	s_cbranch_execz .LBB2_768
; %bb.765:                              ;   in Loop: Header=BB2_681 Depth=2
	v_bfe_u32 v3, v119, 2, 5
	s_mov_b32 s24, exec_lo
	s_delay_alu instid0(VALU_DEP_1)
	v_cmpx_eq_u32_e32 0, v3
	s_cbranch_execz .LBB2_767
; %bb.766:                              ;   in Loop: Header=BB2_681 Depth=2
	v_clz_i32_u32_e32 v3, v41
	s_delay_alu instid0(VALU_DEP_1) | instskip(SKIP_1) | instid1(VALU_DEP_2)
	v_min_u32_e32 v3, 32, v3
	v_mov_b32_e32 v41, v55
	v_subrev_nc_u32_e32 v119, 29, v3
	v_sub_nc_u32_e32 v3, 30, v3
	s_delay_alu instid0(VALU_DEP_2) | instskip(NEXT) | instid1(VALU_DEP_1)
	v_lshlrev_b64_e32 v[40:41], v119, v[40:41]
	v_and_b32_e32 v41, 3, v40
.LBB2_767:                              ;   in Loop: Header=BB2_681 Depth=2
	s_or_b32 exec_lo, exec_lo, s24
	v_lshlrev_b32_e32 v119, 16, v2
	s_delay_alu instid0(VALU_DEP_1) | instskip(NEXT) | instid1(VALU_DEP_1)
	v_and_b32_e32 v119, 0x80000000, v119
	v_lshl_add_u32 v3, v3, 23, v119
	s_delay_alu instid0(VALU_DEP_1) | instskip(NEXT) | instid1(VALU_DEP_1)
	v_lshl_or_b32 v3, v41, 21, v3
                                        ; implicit-def: $vgpr41
	v_add_nc_u32_e32 v3, 0x38000000, v3
.LBB2_768:                              ;   in Loop: Header=BB2_681 Depth=2
	s_and_not1_saveexec_b32 s23, s23
; %bb.769:                              ;   in Loop: Header=BB2_681 Depth=2
	v_cmp_lt_i16_e64 s8, -1, v2
	s_delay_alu instid0(VALU_DEP_1) | instskip(SKIP_1) | instid1(VALU_DEP_1)
	v_cndmask_b32_e64 v3, 0xff800000, v21, s8
	v_cmp_eq_u32_e64 s8, 0, v41
	v_cndmask_b32_e64 v3, 0x7f800001, v3, s8
; %bb.770:                              ;   in Loop: Header=BB2_681 Depth=2
	s_or_b32 exec_lo, exec_lo, s23
.LBB2_771:                              ;   in Loop: Header=BB2_681 Depth=2
	s_delay_alu instid0(SALU_CYCLE_1)
	s_or_b32 exec_lo, exec_lo, s22
.LBB2_772:                              ;   in Loop: Header=BB2_681 Depth=2
	s_delay_alu instid0(SALU_CYCLE_1) | instskip(NEXT) | instid1(SALU_CYCLE_1)
	s_or_b32 exec_lo, exec_lo, s21
	s_mov_b32 s21, exec_lo
	v_cmpx_ne_u16_e32 0, v118
	s_cbranch_execz .LBB2_782
; %bb.773:                              ;   in Loop: Header=BB2_681 Depth=2
	v_bfrev_b32_e32 v30, 1
	s_mov_b32 s22, exec_lo
	v_cmpx_ne_u16_e32 0x80, v118
	s_cbranch_execz .LBB2_781
; %bb.774:                              ;   in Loop: Header=BB2_681 Depth=2
	v_and_b32_e32 v40, 0xffff, v118
	s_delay_alu instid0(VALU_DEP_1) | instskip(SKIP_1) | instid1(VALU_DEP_2)
	v_and_b32_e32 v30, 0x7c, v40
	v_and_b32_e32 v119, 3, v40
	v_cmp_ne_u32_e64 s8, 0x7c, v30
                                        ; implicit-def: $vgpr30
	s_and_saveexec_b32 s23, s8
	s_delay_alu instid0(SALU_CYCLE_1)
	s_xor_b32 s23, exec_lo, s23
	s_cbranch_execz .LBB2_778
; %bb.775:                              ;   in Loop: Header=BB2_681 Depth=2
	v_bfe_u32 v30, v40, 2, 5
	s_mov_b32 s24, exec_lo
	s_delay_alu instid0(VALU_DEP_1)
	v_cmpx_eq_u32_e32 0, v30
	s_cbranch_execz .LBB2_777
; %bb.776:                              ;   in Loop: Header=BB2_681 Depth=2
	v_clz_i32_u32_e32 v30, v119
	s_delay_alu instid0(VALU_DEP_1) | instskip(SKIP_1) | instid1(VALU_DEP_2)
	v_min_u32_e32 v30, 32, v30
	v_mov_b32_e32 v119, v55
	v_subrev_nc_u32_e32 v40, 29, v30
	v_sub_nc_u32_e32 v30, 30, v30
	s_delay_alu instid0(VALU_DEP_2) | instskip(NEXT) | instid1(VALU_DEP_1)
	v_lshlrev_b64_e32 v[118:119], v40, v[118:119]
	v_and_b32_e32 v119, 3, v118
.LBB2_777:                              ;   in Loop: Header=BB2_681 Depth=2
	s_or_b32 exec_lo, exec_lo, s24
	v_lshlrev_b32_e32 v118, 16, v54
	s_delay_alu instid0(VALU_DEP_1) | instskip(NEXT) | instid1(VALU_DEP_1)
	v_and_b32_e32 v118, 0x80000000, v118
	v_lshl_add_u32 v30, v30, 23, v118
	s_delay_alu instid0(VALU_DEP_1) | instskip(NEXT) | instid1(VALU_DEP_1)
	v_lshl_or_b32 v30, v119, 21, v30
                                        ; implicit-def: $vgpr119
	v_add_nc_u32_e32 v30, 0x38000000, v30
.LBB2_778:                              ;   in Loop: Header=BB2_681 Depth=2
	s_and_not1_saveexec_b32 s23, s23
; %bb.779:                              ;   in Loop: Header=BB2_681 Depth=2
	v_cmp_lt_i16_e64 s8, -1, v54
	s_delay_alu instid0(VALU_DEP_1) | instskip(SKIP_1) | instid1(VALU_DEP_1)
	v_cndmask_b32_e64 v30, 0xff800000, v21, s8
	v_cmp_eq_u32_e64 s8, 0, v119
	v_cndmask_b32_e64 v30, 0x7f800001, v30, s8
; %bb.780:                              ;   in Loop: Header=BB2_681 Depth=2
	s_or_b32 exec_lo, exec_lo, s23
.LBB2_781:                              ;   in Loop: Header=BB2_681 Depth=2
	s_delay_alu instid0(SALU_CYCLE_1)
	s_or_b32 exec_lo, exec_lo, s22
.LBB2_782:                              ;   in Loop: Header=BB2_681 Depth=2
	s_delay_alu instid0(SALU_CYCLE_1) | instskip(NEXT) | instid1(VALU_DEP_1)
	s_or_b32 exec_lo, exec_lo, s21
	v_dual_max_num_f32 v30, v30, v30 :: v_dual_max_num_f32 v3, v3, v3
                                        ; implicit-def: $vgpr118
                                        ; implicit-def: $vgpr40
                                        ; implicit-def: $vgpr119
	s_delay_alu instid0(VALU_DEP_1)
	v_max_num_f32_e32 v30, v3, v30
.LBB2_783:                              ;   in Loop: Header=BB2_681 Depth=2
	s_and_not1_saveexec_b32 s8, s20
	s_cbranch_execz .LBB2_805
; %bb.784:                              ;   in Loop: Header=BB2_681 Depth=2
	v_dual_mov_b32 v30, 0 :: v_dual_mov_b32 v3, 0
	s_and_saveexec_b32 s20, vcc_lo
	s_cbranch_execz .LBB2_794
; %bb.785:                              ;   in Loop: Header=BB2_681 Depth=2
	v_bfrev_b32_e32 v3, 1
	s_mov_b32 s21, exec_lo
	v_cmpx_ne_u16_e32 0x80, v40
	s_cbranch_execz .LBB2_793
; %bb.786:                              ;   in Loop: Header=BB2_681 Depth=2
	v_and_b32_e32 v3, 0x7c, v119
	v_and_b32_e32 v41, 3, v119
	s_delay_alu instid0(VALU_DEP_2) | instskip(SKIP_1) | instid1(SALU_CYCLE_1)
	v_cmp_ne_u32_e32 vcc_lo, 0x7c, v3
                                        ; implicit-def: $vgpr3
	s_and_saveexec_b32 s22, vcc_lo
	s_xor_b32 s22, exec_lo, s22
	s_cbranch_execz .LBB2_790
; %bb.787:                              ;   in Loop: Header=BB2_681 Depth=2
	v_bfe_u32 v3, v119, 2, 5
	s_mov_b32 s23, exec_lo
	s_delay_alu instid0(VALU_DEP_1)
	v_cmpx_eq_u32_e32 0, v3
	s_cbranch_execz .LBB2_789
; %bb.788:                              ;   in Loop: Header=BB2_681 Depth=2
	v_clz_i32_u32_e32 v3, v41
	s_delay_alu instid0(VALU_DEP_1) | instskip(SKIP_1) | instid1(VALU_DEP_2)
	v_min_u32_e32 v3, 32, v3
	v_mov_b32_e32 v41, v55
	v_subrev_nc_u32_e32 v119, 29, v3
	v_sub_nc_u32_e32 v3, 30, v3
	s_delay_alu instid0(VALU_DEP_2) | instskip(NEXT) | instid1(VALU_DEP_1)
	v_lshlrev_b64_e32 v[40:41], v119, v[40:41]
	v_and_b32_e32 v41, 3, v40
.LBB2_789:                              ;   in Loop: Header=BB2_681 Depth=2
	s_or_b32 exec_lo, exec_lo, s23
	v_lshlrev_b32_e32 v119, 16, v2
	s_delay_alu instid0(VALU_DEP_1) | instskip(NEXT) | instid1(VALU_DEP_1)
	v_and_b32_e32 v119, 0x80000000, v119
	v_lshl_add_u32 v3, v3, 23, v119
	s_delay_alu instid0(VALU_DEP_1) | instskip(NEXT) | instid1(VALU_DEP_1)
	v_lshl_or_b32 v3, v41, 21, v3
                                        ; implicit-def: $vgpr41
	v_add_nc_u32_e32 v3, 0x38000000, v3
.LBB2_790:                              ;   in Loop: Header=BB2_681 Depth=2
	s_and_not1_saveexec_b32 s22, s22
; %bb.791:                              ;   in Loop: Header=BB2_681 Depth=2
	v_cmp_lt_i16_e32 vcc_lo, -1, v2
	v_cndmask_b32_e32 v3, 0xff800000, v21, vcc_lo
	v_cmp_eq_u32_e32 vcc_lo, 0, v41
	s_delay_alu instid0(VALU_DEP_2)
	v_cndmask_b32_e32 v3, 0x7f800001, v3, vcc_lo
; %bb.792:                              ;   in Loop: Header=BB2_681 Depth=2
	s_or_b32 exec_lo, exec_lo, s22
.LBB2_793:                              ;   in Loop: Header=BB2_681 Depth=2
	s_delay_alu instid0(SALU_CYCLE_1)
	s_or_b32 exec_lo, exec_lo, s21
.LBB2_794:                              ;   in Loop: Header=BB2_681 Depth=2
	s_delay_alu instid0(SALU_CYCLE_1) | instskip(NEXT) | instid1(SALU_CYCLE_1)
	s_or_b32 exec_lo, exec_lo, s20
	s_mov_b32 s20, exec_lo
	v_cmpx_ne_u16_e32 0, v118
	s_cbranch_execz .LBB2_804
; %bb.795:                              ;   in Loop: Header=BB2_681 Depth=2
	v_bfrev_b32_e32 v30, 1
	s_mov_b32 s21, exec_lo
	v_cmpx_ne_u16_e32 0x80, v118
	s_cbranch_execz .LBB2_803
; %bb.796:                              ;   in Loop: Header=BB2_681 Depth=2
	v_and_b32_e32 v40, 0xffff, v118
	s_delay_alu instid0(VALU_DEP_1) | instskip(SKIP_1) | instid1(VALU_DEP_2)
	v_and_b32_e32 v30, 0x7c, v40
	v_and_b32_e32 v119, 3, v40
	v_cmp_ne_u32_e32 vcc_lo, 0x7c, v30
                                        ; implicit-def: $vgpr30
	s_and_saveexec_b32 s22, vcc_lo
	s_delay_alu instid0(SALU_CYCLE_1)
	s_xor_b32 s22, exec_lo, s22
	s_cbranch_execz .LBB2_800
; %bb.797:                              ;   in Loop: Header=BB2_681 Depth=2
	v_bfe_u32 v30, v40, 2, 5
	s_mov_b32 s23, exec_lo
	s_delay_alu instid0(VALU_DEP_1)
	v_cmpx_eq_u32_e32 0, v30
	s_cbranch_execz .LBB2_799
; %bb.798:                              ;   in Loop: Header=BB2_681 Depth=2
	v_clz_i32_u32_e32 v30, v119
	s_delay_alu instid0(VALU_DEP_1) | instskip(SKIP_1) | instid1(VALU_DEP_2)
	v_min_u32_e32 v30, 32, v30
	v_mov_b32_e32 v119, v55
	v_subrev_nc_u32_e32 v40, 29, v30
	v_sub_nc_u32_e32 v30, 30, v30
	s_delay_alu instid0(VALU_DEP_2) | instskip(NEXT) | instid1(VALU_DEP_1)
	v_lshlrev_b64_e32 v[118:119], v40, v[118:119]
	v_and_b32_e32 v119, 3, v118
.LBB2_799:                              ;   in Loop: Header=BB2_681 Depth=2
	s_or_b32 exec_lo, exec_lo, s23
	v_lshlrev_b32_e32 v118, 16, v54
	s_delay_alu instid0(VALU_DEP_1) | instskip(NEXT) | instid1(VALU_DEP_1)
	v_and_b32_e32 v118, 0x80000000, v118
	v_lshl_add_u32 v30, v30, 23, v118
	s_delay_alu instid0(VALU_DEP_1) | instskip(NEXT) | instid1(VALU_DEP_1)
	v_lshl_or_b32 v30, v119, 21, v30
                                        ; implicit-def: $vgpr119
	v_add_nc_u32_e32 v30, 0x38000000, v30
.LBB2_800:                              ;   in Loop: Header=BB2_681 Depth=2
	s_and_not1_saveexec_b32 s22, s22
; %bb.801:                              ;   in Loop: Header=BB2_681 Depth=2
	v_cmp_lt_i16_e32 vcc_lo, -1, v54
	v_cndmask_b32_e32 v30, 0xff800000, v21, vcc_lo
	v_cmp_eq_u32_e32 vcc_lo, 0, v119
	s_delay_alu instid0(VALU_DEP_2)
	v_cndmask_b32_e32 v30, 0x7f800001, v30, vcc_lo
; %bb.802:                              ;   in Loop: Header=BB2_681 Depth=2
	s_or_b32 exec_lo, exec_lo, s22
.LBB2_803:                              ;   in Loop: Header=BB2_681 Depth=2
	s_delay_alu instid0(SALU_CYCLE_1)
	s_or_b32 exec_lo, exec_lo, s21
.LBB2_804:                              ;   in Loop: Header=BB2_681 Depth=2
	s_delay_alu instid0(SALU_CYCLE_1) | instskip(NEXT) | instid1(VALU_DEP_1)
	s_or_b32 exec_lo, exec_lo, s20
	v_dual_max_num_f32 v30, v30, v30 :: v_dual_max_num_f32 v3, v3, v3
	s_delay_alu instid0(VALU_DEP_1)
	v_min_num_f32_e32 v30, v3, v30
.LBB2_805:                              ;   in Loop: Header=BB2_681 Depth=2
	s_or_b32 exec_lo, exec_lo, s8
	s_delay_alu instid0(VALU_DEP_1) | instskip(SKIP_4) | instid1(VALU_DEP_3)
	v_and_b32_e32 v40, 0x7f800000, v30
	v_dual_mov_b32 v41, v55 :: v_dual_mov_b32 v119, v55
	v_and_b32_e32 v118, 0x7fffff, v30
	v_lshrrev_b32_e32 v3, 24, v30
                                        ; implicit-def: $vgpr43
	s_mov_b32 s8, exec_lo
	v_cmpx_ne_u64_e32 0x7f800000, v[40:41]
	s_xor_b32 s20, exec_lo, s8
	s_cbranch_execz .LBB2_819
; %bb.806:                              ;   in Loop: Header=BB2_681 Depth=2
	v_and_b32_e32 v40, 0x7fffffff, v30
	v_mov_b32_e32 v41, v55
	v_and_b32_e32 v3, 0x80, v3
                                        ; implicit-def: $vgpr43
	s_mov_b32 s8, exec_lo
	s_delay_alu instid0(VALU_DEP_2)
	v_cmpx_gt_u64_e32 0x47600001, v[40:41]
	s_xor_b32 s21, exec_lo, s8
	s_cbranch_execz .LBB2_816
; %bb.807:                              ;   in Loop: Header=BB2_681 Depth=2
	v_mov_b32_e32 v43, 0
	s_mov_b32 s22, exec_lo
	v_cmpx_ne_u32_e32 0, v30
	s_cbranch_execz .LBB2_815
; %bb.808:                              ;   in Loop: Header=BB2_681 Depth=2
	v_bfe_u32 v30, v30, 23, 8
	v_or_b32_e32 v44, 0x800000, v118
	s_delay_alu instid0(VALU_DEP_2) | instskip(SKIP_1) | instid1(VALU_DEP_2)
	v_sub_nc_u32_e32 v40, 0x71, v30
	v_cmp_gt_u32_e32 vcc_lo, 0x72, v30
	v_cndmask_b32_e32 v40, 0, v40, vcc_lo
	v_cmp_eq_u32_e32 vcc_lo, 0, v30
	s_delay_alu instid0(VALU_DEP_2) | instskip(NEXT) | instid1(VALU_DEP_1)
	v_cndmask_b32_e64 v43, v40, 0x70, vcc_lo
	v_dual_cndmask_b32 v118, v44, v118, vcc_lo :: v_dual_add_nc_u32 v40, 21, v43
	v_add_nc_u32_e32 v47, 20, v43
	s_delay_alu instid0(VALU_DEP_2) | instskip(NEXT) | instid1(VALU_DEP_2)
	v_lshlrev_b64_e64 v[40:41], v40, -1
	v_lshlrev_b64_e64 v[62:63], v47, 1
	s_delay_alu instid0(VALU_DEP_2) | instskip(SKIP_1) | instid1(VALU_DEP_4)
	v_bfi_b32 v40, v40, 0, v118
	v_lshrrev_b64 v[118:119], v43, v[118:119]
	v_bfi_b32 v41, v41, 0, 0
	s_delay_alu instid0(VALU_DEP_1) | instskip(NEXT) | instid1(VALU_DEP_3)
	v_cmp_eq_u64_e64 s8, v[40:41], v[62:63]
	v_mov_b64_e32 v[40:41], v[118:119]
	s_and_saveexec_b32 s23, s8
; %bb.809:                              ;   in Loop: Header=BB2_681 Depth=2
	v_bfe_u32 v40, v118, 21, 1
	v_mov_b32_e32 v41, v55
	s_delay_alu instid0(VALU_DEP_1) | instskip(NEXT) | instid1(VALU_DEP_1)
	v_add_nc_u64_e32 v[40:41], v[118:119], v[40:41]
	v_add_nc_u64_e32 v[40:41], -1, v[40:41]
; %bb.810:                              ;   in Loop: Header=BB2_681 Depth=2
	s_or_b32 exec_lo, exec_lo, s23
	v_add_nc_u32_e32 v30, 0xffffff81, v30
	v_lshrrev_b32_e32 v119, 23, v118
	s_mov_b32 s8, exec_lo
	s_delay_alu instid0(VALU_DEP_2) | instskip(NEXT) | instid1(VALU_DEP_1)
	v_cndmask_b32_e64 v30, v30, 0xffffff82, vcc_lo
	v_add3_u32 v41, v43, v30, v119
	v_and_b32_e32 v30, 0x1fffff, v40
	s_delay_alu instid0(VALU_DEP_2) | instskip(NEXT) | instid1(VALU_DEP_2)
	v_dual_mov_b32 v119, v55 :: v_dual_add_nc_u32 v40, 14, v41
	v_add_nc_u32_e32 v118, v30, v118
                                        ; implicit-def: $vgpr30
	s_delay_alu instid0(VALU_DEP_2)
	v_cmpx_ne_u32_e32 0, v40
	s_xor_b32 s8, exec_lo, s8
; %bb.811:                              ;   in Loop: Header=BB2_681 Depth=2
	s_delay_alu instid0(VALU_DEP_2) | instskip(SKIP_1) | instid1(VALU_DEP_1)
	v_cmp_lt_u64_e32 vcc_lo, 0xffffff, v[118:119]
	v_add_nc_u32_e32 v30, 15, v41
	v_cndmask_b32_e32 v30, v40, v30, vcc_lo
	v_cndmask_b32_e64 v40, 0, 1, vcc_lo
	s_delay_alu instid0(VALU_DEP_1)
	v_lshrrev_b64 v[118:119], v40, v[118:119]
; %bb.812:                              ;   in Loop: Header=BB2_681 Depth=2
	s_and_not1_saveexec_b32 s8, s8
; %bb.813:                              ;   in Loop: Header=BB2_681 Depth=2
	s_delay_alu instid0(VALU_DEP_1)
	v_bfe_u32 v30, v118, 23, 1
; %bb.814:                              ;   in Loop: Header=BB2_681 Depth=2
	s_or_b32 exec_lo, exec_lo, s8
	s_delay_alu instid0(VALU_DEP_2) | instskip(NEXT) | instid1(VALU_DEP_2)
	v_lshrrev_b64 v[118:119], 21, v[118:119]
	v_cmp_gt_i32_e32 vcc_lo, 32, v30
	v_min_i32_e32 v40, 31, v30
	v_cmp_eq_u32_e64 s8, 0, v30
	s_delay_alu instid0(VALU_DEP_2) | instskip(SKIP_1) | instid1(VALU_DEP_2)
	v_dual_cndmask_b32 v119, 0, v119 :: v_dual_lshlrev_b32 v40, 2, v40
	v_cndmask_b32_e32 v118, 3, v118, vcc_lo
	v_and_b32_e32 v40, 0xfc, v40
	s_delay_alu instid0(VALU_DEP_2) | instskip(NEXT) | instid1(VALU_DEP_2)
	v_cmp_eq_u64_e32 vcc_lo, 0, v[118:119]
	v_and_or_b32 v30, v118, 3, v40
	s_and_b32 s8, s8, vcc_lo
	s_delay_alu instid0(VALU_DEP_1) | instid1(SALU_CYCLE_1)
	v_cndmask_b32_e64 v30, v30, 0, s8
	s_delay_alu instid0(VALU_DEP_1)
	v_or_b32_e32 v43, v30, v3
.LBB2_815:                              ;   in Loop: Header=BB2_681 Depth=2
	s_or_b32 exec_lo, exec_lo, s22
                                        ; implicit-def: $vgpr3
.LBB2_816:                              ;   in Loop: Header=BB2_681 Depth=2
	s_and_not1_saveexec_b32 s8, s21
; %bb.817:                              ;   in Loop: Header=BB2_681 Depth=2
	v_or_b32_e32 v43, 0x7b, v3
; %bb.818:                              ;   in Loop: Header=BB2_681 Depth=2
	s_or_b32 exec_lo, exec_lo, s8
                                        ; implicit-def: $vgpr30
                                        ; implicit-def: $vgpr118_vgpr119
                                        ; implicit-def: $vgpr3
.LBB2_819:                              ;   in Loop: Header=BB2_681 Depth=2
	s_and_not1_saveexec_b32 s8, s20
	s_cbranch_execz .LBB2_825
; %bb.820:                              ;   in Loop: Header=BB2_681 Depth=2
	s_mov_b32 s20, exec_lo
                                        ; implicit-def: $vgpr43
	v_cmpx_ne_u64_e32 0, v[118:119]
	s_xor_b32 s20, exec_lo, s20
; %bb.821:                              ;   in Loop: Header=BB2_681 Depth=2
	v_or_b32_e32 v43, 0x7f, v3
                                        ; implicit-def: $vgpr30
; %bb.822:                              ;   in Loop: Header=BB2_681 Depth=2
	s_and_not1_saveexec_b32 s20, s20
; %bb.823:                              ;   in Loop: Header=BB2_681 Depth=2
	v_cmp_lt_i32_e32 vcc_lo, -1, v30
	v_cndmask_b32_e32 v43, 0xfc, v58, vcc_lo
; %bb.824:                              ;   in Loop: Header=BB2_681 Depth=2
	s_or_b32 exec_lo, exec_lo, s20
.LBB2_825:                              ;   in Loop: Header=BB2_681 Depth=2
	s_delay_alu instid0(SALU_CYCLE_1) | instskip(SKIP_2) | instid1(VALU_DEP_2)
	s_or_b32 exec_lo, exec_lo, s8
	v_lshrrev_b32_e32 v118, 16, v2
	v_lshrrev_b32_e32 v30, 16, v54
                                        ; implicit-def: $vgpr40
	v_and_b32_e32 v41, 0xff, v118
	s_delay_alu instid0(VALU_DEP_1) | instskip(SKIP_1) | instid1(SALU_CYCLE_1)
	v_cmp_ne_u16_e32 vcc_lo, 0, v41
	s_and_saveexec_b32 s8, s6
	s_xor_b32 s20, exec_lo, s8
	s_cbranch_execz .LBB2_847
; %bb.826:                              ;   in Loop: Header=BB2_681 Depth=2
	v_dual_mov_b32 v119, 0 :: v_dual_mov_b32 v3, 0
	s_and_saveexec_b32 s21, vcc_lo
	s_cbranch_execz .LBB2_836
; %bb.827:                              ;   in Loop: Header=BB2_681 Depth=2
	v_bfrev_b32_e32 v3, 1
	s_mov_b32 s22, exec_lo
	v_cmpx_ne_u16_e32 0x80, v41
	s_cbranch_execz .LBB2_835
; %bb.828:                              ;   in Loop: Header=BB2_681 Depth=2
	v_and_b32_e32 v3, 0x7c0000, v2
	v_bfe_u32 v40, v2, 16, 2
	s_delay_alu instid0(VALU_DEP_2) | instskip(SKIP_1) | instid1(SALU_CYCLE_1)
	v_cmp_ne_u32_e64 s8, 0x7c0000, v3
                                        ; implicit-def: $vgpr3
	s_and_saveexec_b32 s23, s8
	s_xor_b32 s23, exec_lo, s23
	s_cbranch_execz .LBB2_832
; %bb.829:                              ;   in Loop: Header=BB2_681 Depth=2
	v_bfe_u32 v3, v2, 18, 5
	s_mov_b32 s24, exec_lo
	s_delay_alu instid0(VALU_DEP_1)
	v_cmpx_eq_u32_e32 0, v3
; %bb.830:                              ;   in Loop: Header=BB2_681 Depth=2
	v_clz_i32_u32_e32 v3, v40
	s_delay_alu instid0(VALU_DEP_1) | instskip(NEXT) | instid1(VALU_DEP_1)
	v_min_u32_e32 v3, 32, v3
	v_subrev_nc_u32_e32 v40, 29, v3
	s_delay_alu instid0(VALU_DEP_1) | instskip(NEXT) | instid1(VALU_DEP_1)
	v_lshlrev_b64_e32 v[40:41], v40, v[118:119]
	v_dual_sub_nc_u32 v3, 30, v3 :: v_dual_bitop2_b32 v40, 3, v40 bitop3:0x40
; %bb.831:                              ;   in Loop: Header=BB2_681 Depth=2
	s_or_b32 exec_lo, exec_lo, s24
	v_lshlrev_b32_e32 v118, 24, v118
	s_delay_alu instid0(VALU_DEP_1) | instskip(NEXT) | instid1(VALU_DEP_1)
	v_and_b32_e32 v118, 0x80000000, v118
	v_lshl_add_u32 v3, v3, 23, v118
                                        ; implicit-def: $vgpr118
	s_delay_alu instid0(VALU_DEP_1) | instskip(NEXT) | instid1(VALU_DEP_1)
	v_lshl_or_b32 v3, v40, 21, v3
                                        ; implicit-def: $vgpr40
	v_add_nc_u32_e32 v3, 0x38000000, v3
.LBB2_832:                              ;   in Loop: Header=BB2_681 Depth=2
	s_and_not1_saveexec_b32 s23, s23
; %bb.833:                              ;   in Loop: Header=BB2_681 Depth=2
	v_bfe_i32 v3, v118, 0, 8
	s_delay_alu instid0(VALU_DEP_1) | instskip(NEXT) | instid1(VALU_DEP_1)
	v_cmp_lt_i16_e64 s8, -1, v3
	v_cndmask_b32_e64 v3, 0xff800000, v21, s8
	v_cmp_eq_u32_e64 s8, 0, v40
	s_delay_alu instid0(VALU_DEP_1)
	v_cndmask_b32_e64 v3, 0x7f800001, v3, s8
; %bb.834:                              ;   in Loop: Header=BB2_681 Depth=2
	s_or_b32 exec_lo, exec_lo, s23
.LBB2_835:                              ;   in Loop: Header=BB2_681 Depth=2
	s_delay_alu instid0(SALU_CYCLE_1)
	s_or_b32 exec_lo, exec_lo, s22
.LBB2_836:                              ;   in Loop: Header=BB2_681 Depth=2
	s_delay_alu instid0(SALU_CYCLE_1) | instskip(SKIP_2) | instid1(VALU_DEP_1)
	s_or_b32 exec_lo, exec_lo, s21
	v_lshrrev_b32_e32 v40, 16, v54
	s_mov_b32 s21, exec_lo
	v_and_b32_e32 v118, 0xff, v40
	s_delay_alu instid0(VALU_DEP_1)
	v_cmpx_ne_u16_e32 0, v118
	s_cbranch_execz .LBB2_846
; %bb.837:                              ;   in Loop: Header=BB2_681 Depth=2
	v_bfrev_b32_e32 v119, 1
	s_mov_b32 s22, exec_lo
	v_cmpx_ne_u16_e32 0x80, v118
	s_cbranch_execz .LBB2_845
; %bb.838:                              ;   in Loop: Header=BB2_681 Depth=2
	v_and_b32_e32 v119, 0x7c0000, v54
	v_bfe_u32 v118, v54, 16, 2
	s_delay_alu instid0(VALU_DEP_2) | instskip(SKIP_1) | instid1(SALU_CYCLE_1)
	v_cmp_ne_u32_e64 s8, 0x7c0000, v119
                                        ; implicit-def: $vgpr119
	s_and_saveexec_b32 s23, s8
	s_xor_b32 s23, exec_lo, s23
	s_cbranch_execz .LBB2_842
; %bb.839:                              ;   in Loop: Header=BB2_681 Depth=2
	v_bfe_u32 v119, v54, 18, 5
	s_mov_b32 s24, exec_lo
	s_delay_alu instid0(VALU_DEP_1)
	v_cmpx_eq_u32_e32 0, v119
; %bb.840:                              ;   in Loop: Header=BB2_681 Depth=2
	v_clz_i32_u32_e32 v118, v118
	s_delay_alu instid0(VALU_DEP_1) | instskip(NEXT) | instid1(VALU_DEP_1)
	v_min_u32_e32 v40, 32, v118
	v_subrev_nc_u32_e32 v118, 29, v40
	s_delay_alu instid0(VALU_DEP_1) | instskip(NEXT) | instid1(VALU_DEP_1)
	v_lshlrev_b64_e32 v[118:119], v118, v[30:31]
	v_dual_sub_nc_u32 v119, 30, v40 :: v_dual_bitop2_b32 v118, 3, v118 bitop3:0x40
; %bb.841:                              ;   in Loop: Header=BB2_681 Depth=2
	s_or_b32 exec_lo, exec_lo, s24
	v_lshlrev_b32_e32 v30, 24, v30
                                        ; implicit-def: $vgpr40
	s_delay_alu instid0(VALU_DEP_1) | instskip(NEXT) | instid1(VALU_DEP_1)
	v_and_b32_e32 v30, 0x80000000, v30
	v_lshl_add_u32 v30, v119, 23, v30
	s_delay_alu instid0(VALU_DEP_1) | instskip(NEXT) | instid1(VALU_DEP_1)
	v_lshl_or_b32 v30, v118, 21, v30
                                        ; implicit-def: $vgpr118
	v_add_nc_u32_e32 v119, 0x38000000, v30
.LBB2_842:                              ;   in Loop: Header=BB2_681 Depth=2
	s_and_not1_saveexec_b32 s23, s23
; %bb.843:                              ;   in Loop: Header=BB2_681 Depth=2
	v_bfe_i32 v30, v40, 0, 8
	s_delay_alu instid0(VALU_DEP_1) | instskip(NEXT) | instid1(VALU_DEP_1)
	v_cmp_lt_i16_e64 s8, -1, v30
	v_cndmask_b32_e64 v30, 0xff800000, v21, s8
	v_cmp_eq_u32_e64 s8, 0, v118
	s_delay_alu instid0(VALU_DEP_1)
	v_cndmask_b32_e64 v119, 0x7f800001, v30, s8
; %bb.844:                              ;   in Loop: Header=BB2_681 Depth=2
	s_or_b32 exec_lo, exec_lo, s23
.LBB2_845:                              ;   in Loop: Header=BB2_681 Depth=2
	s_delay_alu instid0(SALU_CYCLE_1)
	s_or_b32 exec_lo, exec_lo, s22
.LBB2_846:                              ;   in Loop: Header=BB2_681 Depth=2
	s_delay_alu instid0(SALU_CYCLE_1) | instskip(NEXT) | instid1(VALU_DEP_1)
	s_or_b32 exec_lo, exec_lo, s21
	v_max_num_f32_e32 v30, v119, v119
	v_max_num_f32_e32 v3, v3, v3
                                        ; implicit-def: $vgpr41
                                        ; implicit-def: $vgpr118
	s_delay_alu instid0(VALU_DEP_1)
	v_max_num_f32_e32 v40, v3, v30
                                        ; implicit-def: $vgpr30
.LBB2_847:                              ;   in Loop: Header=BB2_681 Depth=2
	s_and_not1_saveexec_b32 s8, s20
	s_cbranch_execz .LBB2_869
; %bb.848:                              ;   in Loop: Header=BB2_681 Depth=2
	v_dual_mov_b32 v119, 0 :: v_dual_mov_b32 v3, 0
	s_and_saveexec_b32 s20, vcc_lo
	s_cbranch_execz .LBB2_858
; %bb.849:                              ;   in Loop: Header=BB2_681 Depth=2
	v_bfrev_b32_e32 v3, 1
	s_mov_b32 s21, exec_lo
	v_cmpx_ne_u16_e32 0x80, v41
	s_cbranch_execz .LBB2_857
; %bb.850:                              ;   in Loop: Header=BB2_681 Depth=2
	v_and_b32_e32 v3, 0x7c0000, v2
	v_bfe_u32 v40, v2, 16, 2
	s_delay_alu instid0(VALU_DEP_2) | instskip(SKIP_1) | instid1(SALU_CYCLE_1)
	v_cmp_ne_u32_e32 vcc_lo, 0x7c0000, v3
                                        ; implicit-def: $vgpr3
	s_and_saveexec_b32 s22, vcc_lo
	s_xor_b32 s22, exec_lo, s22
	s_cbranch_execz .LBB2_854
; %bb.851:                              ;   in Loop: Header=BB2_681 Depth=2
	v_bfe_u32 v3, v2, 18, 5
	s_mov_b32 s23, exec_lo
	s_delay_alu instid0(VALU_DEP_1)
	v_cmpx_eq_u32_e32 0, v3
; %bb.852:                              ;   in Loop: Header=BB2_681 Depth=2
	v_clz_i32_u32_e32 v3, v40
	s_delay_alu instid0(VALU_DEP_1) | instskip(NEXT) | instid1(VALU_DEP_1)
	v_min_u32_e32 v3, 32, v3
	v_subrev_nc_u32_e32 v40, 29, v3
	s_delay_alu instid0(VALU_DEP_1) | instskip(NEXT) | instid1(VALU_DEP_1)
	v_lshlrev_b64_e32 v[40:41], v40, v[118:119]
	v_dual_sub_nc_u32 v3, 30, v3 :: v_dual_bitop2_b32 v40, 3, v40 bitop3:0x40
; %bb.853:                              ;   in Loop: Header=BB2_681 Depth=2
	s_or_b32 exec_lo, exec_lo, s23
	v_lshlrev_b32_e32 v118, 24, v118
	s_delay_alu instid0(VALU_DEP_1) | instskip(NEXT) | instid1(VALU_DEP_1)
	v_and_b32_e32 v118, 0x80000000, v118
	v_lshl_add_u32 v3, v3, 23, v118
                                        ; implicit-def: $vgpr118
	s_delay_alu instid0(VALU_DEP_1) | instskip(NEXT) | instid1(VALU_DEP_1)
	v_lshl_or_b32 v3, v40, 21, v3
                                        ; implicit-def: $vgpr40
	v_add_nc_u32_e32 v3, 0x38000000, v3
.LBB2_854:                              ;   in Loop: Header=BB2_681 Depth=2
	s_and_not1_saveexec_b32 s22, s22
; %bb.855:                              ;   in Loop: Header=BB2_681 Depth=2
	v_bfe_i32 v3, v118, 0, 8
	s_delay_alu instid0(VALU_DEP_1) | instskip(SKIP_2) | instid1(VALU_DEP_2)
	v_cmp_lt_i16_e32 vcc_lo, -1, v3
	v_cndmask_b32_e32 v3, 0xff800000, v21, vcc_lo
	v_cmp_eq_u32_e32 vcc_lo, 0, v40
	v_cndmask_b32_e32 v3, 0x7f800001, v3, vcc_lo
; %bb.856:                              ;   in Loop: Header=BB2_681 Depth=2
	s_or_b32 exec_lo, exec_lo, s22
.LBB2_857:                              ;   in Loop: Header=BB2_681 Depth=2
	s_delay_alu instid0(SALU_CYCLE_1)
	s_or_b32 exec_lo, exec_lo, s21
.LBB2_858:                              ;   in Loop: Header=BB2_681 Depth=2
	s_delay_alu instid0(SALU_CYCLE_1) | instskip(SKIP_2) | instid1(VALU_DEP_1)
	s_or_b32 exec_lo, exec_lo, s20
	v_lshrrev_b32_e32 v40, 16, v54
	s_mov_b32 s20, exec_lo
	v_and_b32_e32 v118, 0xff, v40
	s_delay_alu instid0(VALU_DEP_1)
	v_cmpx_ne_u16_e32 0, v118
	s_cbranch_execz .LBB2_868
; %bb.859:                              ;   in Loop: Header=BB2_681 Depth=2
	v_bfrev_b32_e32 v119, 1
	s_mov_b32 s21, exec_lo
	v_cmpx_ne_u16_e32 0x80, v118
	s_cbranch_execz .LBB2_867
; %bb.860:                              ;   in Loop: Header=BB2_681 Depth=2
	v_and_b32_e32 v119, 0x7c0000, v54
	v_bfe_u32 v118, v54, 16, 2
	s_delay_alu instid0(VALU_DEP_2) | instskip(SKIP_1) | instid1(SALU_CYCLE_1)
	v_cmp_ne_u32_e32 vcc_lo, 0x7c0000, v119
                                        ; implicit-def: $vgpr119
	s_and_saveexec_b32 s22, vcc_lo
	s_xor_b32 s22, exec_lo, s22
	s_cbranch_execz .LBB2_864
; %bb.861:                              ;   in Loop: Header=BB2_681 Depth=2
	v_bfe_u32 v119, v54, 18, 5
	s_mov_b32 s23, exec_lo
	s_delay_alu instid0(VALU_DEP_1)
	v_cmpx_eq_u32_e32 0, v119
; %bb.862:                              ;   in Loop: Header=BB2_681 Depth=2
	v_clz_i32_u32_e32 v118, v118
	s_delay_alu instid0(VALU_DEP_1) | instskip(NEXT) | instid1(VALU_DEP_1)
	v_min_u32_e32 v40, 32, v118
	v_subrev_nc_u32_e32 v118, 29, v40
	s_delay_alu instid0(VALU_DEP_1) | instskip(NEXT) | instid1(VALU_DEP_1)
	v_lshlrev_b64_e32 v[118:119], v118, v[30:31]
	v_dual_sub_nc_u32 v119, 30, v40 :: v_dual_bitop2_b32 v118, 3, v118 bitop3:0x40
; %bb.863:                              ;   in Loop: Header=BB2_681 Depth=2
	s_or_b32 exec_lo, exec_lo, s23
	v_lshlrev_b32_e32 v30, 24, v30
                                        ; implicit-def: $vgpr40
	s_delay_alu instid0(VALU_DEP_1) | instskip(NEXT) | instid1(VALU_DEP_1)
	v_and_b32_e32 v30, 0x80000000, v30
	v_lshl_add_u32 v30, v119, 23, v30
	s_delay_alu instid0(VALU_DEP_1) | instskip(NEXT) | instid1(VALU_DEP_1)
	v_lshl_or_b32 v30, v118, 21, v30
                                        ; implicit-def: $vgpr118
	v_add_nc_u32_e32 v119, 0x38000000, v30
.LBB2_864:                              ;   in Loop: Header=BB2_681 Depth=2
	s_and_not1_saveexec_b32 s22, s22
; %bb.865:                              ;   in Loop: Header=BB2_681 Depth=2
	v_bfe_i32 v30, v40, 0, 8
	s_delay_alu instid0(VALU_DEP_1) | instskip(SKIP_2) | instid1(VALU_DEP_2)
	v_cmp_lt_i16_e32 vcc_lo, -1, v30
	v_cndmask_b32_e32 v30, 0xff800000, v21, vcc_lo
	v_cmp_eq_u32_e32 vcc_lo, 0, v118
	v_cndmask_b32_e32 v119, 0x7f800001, v30, vcc_lo
; %bb.866:                              ;   in Loop: Header=BB2_681 Depth=2
	s_or_b32 exec_lo, exec_lo, s22
.LBB2_867:                              ;   in Loop: Header=BB2_681 Depth=2
	s_delay_alu instid0(SALU_CYCLE_1)
	s_or_b32 exec_lo, exec_lo, s21
.LBB2_868:                              ;   in Loop: Header=BB2_681 Depth=2
	s_delay_alu instid0(SALU_CYCLE_1) | instskip(NEXT) | instid1(VALU_DEP_1)
	s_or_b32 exec_lo, exec_lo, s20
	v_max_num_f32_e32 v30, v119, v119
	v_max_num_f32_e32 v3, v3, v3
	s_delay_alu instid0(VALU_DEP_1)
	v_min_num_f32_e32 v40, v3, v30
.LBB2_869:                              ;   in Loop: Header=BB2_681 Depth=2
	s_or_b32 exec_lo, exec_lo, s8
	s_delay_alu instid0(VALU_DEP_1) | instskip(SKIP_4) | instid1(VALU_DEP_3)
	v_and_b32_e32 v62, 0x7f800000, v40
	v_dual_mov_b32 v63, v55 :: v_dual_mov_b32 v119, v55
	v_and_b32_e32 v118, 0x7fffff, v40
	v_lshrrev_b32_e32 v3, 24, v40
                                        ; implicit-def: $vgpr44
	s_mov_b32 s8, exec_lo
	v_cmpx_ne_u64_e32 0x7f800000, v[62:63]
	s_xor_b32 s20, exec_lo, s8
	s_cbranch_execz .LBB2_883
; %bb.870:                              ;   in Loop: Header=BB2_681 Depth=2
	v_and_b32_e32 v62, 0x7fffffff, v40
	v_mov_b32_e32 v63, v55
	v_and_b32_e32 v3, 0x80, v3
                                        ; implicit-def: $vgpr44
	s_mov_b32 s8, exec_lo
	s_delay_alu instid0(VALU_DEP_2)
	v_cmpx_gt_u64_e32 0x47600001, v[62:63]
	s_xor_b32 s21, exec_lo, s8
	s_cbranch_execz .LBB2_880
; %bb.871:                              ;   in Loop: Header=BB2_681 Depth=2
	v_mov_b32_e32 v44, 0
	s_mov_b32 s22, exec_lo
	v_cmpx_ne_u32_e32 0, v40
	s_cbranch_execz .LBB2_879
; %bb.872:                              ;   in Loop: Header=BB2_681 Depth=2
	v_bfe_u32 v30, v40, 23, 8
	v_or_b32_e32 v41, 0x800000, v118
	s_delay_alu instid0(VALU_DEP_2) | instskip(SKIP_2) | instid1(VALU_DEP_2)
	v_cmp_gt_u32_e64 s8, 0x72, v30
	v_sub_nc_u32_e32 v40, 0x71, v30
	v_cmp_eq_u32_e32 vcc_lo, 0, v30
	v_dual_cndmask_b32 v40, 0, v40, s8 :: v_dual_cndmask_b32 v118, v41, v118, vcc_lo
	s_delay_alu instid0(VALU_DEP_1) | instskip(NEXT) | instid1(VALU_DEP_1)
	v_cndmask_b32_e64 v44, v40, 0x70, vcc_lo
	v_dual_add_nc_u32 v40, 21, v44 :: v_dual_add_nc_u32 v47, 20, v44
	s_delay_alu instid0(VALU_DEP_1) | instskip(NEXT) | instid1(VALU_DEP_2)
	v_lshlrev_b64_e64 v[40:41], v40, -1
	v_lshlrev_b64_e64 v[62:63], v47, 1
	s_delay_alu instid0(VALU_DEP_2) | instskip(SKIP_1) | instid1(VALU_DEP_4)
	v_bfi_b32 v40, v40, 0, v118
	v_lshrrev_b64 v[118:119], v44, v[118:119]
	v_bfi_b32 v41, v41, 0, 0
	s_delay_alu instid0(VALU_DEP_1) | instskip(NEXT) | instid1(VALU_DEP_3)
	v_cmp_eq_u64_e64 s8, v[40:41], v[62:63]
	v_mov_b64_e32 v[40:41], v[118:119]
	s_and_saveexec_b32 s23, s8
; %bb.873:                              ;   in Loop: Header=BB2_681 Depth=2
	v_bfe_u32 v40, v118, 21, 1
	v_mov_b32_e32 v41, v55
	s_delay_alu instid0(VALU_DEP_1) | instskip(NEXT) | instid1(VALU_DEP_1)
	v_add_nc_u64_e32 v[40:41], v[118:119], v[40:41]
	v_add_nc_u64_e32 v[40:41], -1, v[40:41]
; %bb.874:                              ;   in Loop: Header=BB2_681 Depth=2
	s_or_b32 exec_lo, exec_lo, s23
	v_add_nc_u32_e32 v30, 0xffffff81, v30
	v_lshrrev_b32_e32 v119, 23, v118
	s_mov_b32 s8, exec_lo
	s_delay_alu instid0(VALU_DEP_2) | instskip(NEXT) | instid1(VALU_DEP_1)
	v_cndmask_b32_e64 v30, v30, 0xffffff82, vcc_lo
	v_add3_u32 v41, v44, v30, v119
	v_and_b32_e32 v30, 0x1fffff, v40
	s_delay_alu instid0(VALU_DEP_2) | instskip(NEXT) | instid1(VALU_DEP_2)
	v_dual_mov_b32 v119, v55 :: v_dual_add_nc_u32 v40, 14, v41
	v_add_nc_u32_e32 v118, v30, v118
                                        ; implicit-def: $vgpr30
	s_delay_alu instid0(VALU_DEP_2)
	v_cmpx_ne_u32_e32 0, v40
	s_xor_b32 s8, exec_lo, s8
; %bb.875:                              ;   in Loop: Header=BB2_681 Depth=2
	s_delay_alu instid0(VALU_DEP_2) | instskip(SKIP_1) | instid1(VALU_DEP_1)
	v_cmp_lt_u64_e32 vcc_lo, 0xffffff, v[118:119]
	v_add_nc_u32_e32 v30, 15, v41
	v_cndmask_b32_e32 v30, v40, v30, vcc_lo
	v_cndmask_b32_e64 v40, 0, 1, vcc_lo
	s_delay_alu instid0(VALU_DEP_1)
	v_lshrrev_b64 v[118:119], v40, v[118:119]
; %bb.876:                              ;   in Loop: Header=BB2_681 Depth=2
	s_and_not1_saveexec_b32 s8, s8
; %bb.877:                              ;   in Loop: Header=BB2_681 Depth=2
	s_delay_alu instid0(VALU_DEP_1)
	v_bfe_u32 v30, v118, 23, 1
; %bb.878:                              ;   in Loop: Header=BB2_681 Depth=2
	s_or_b32 exec_lo, exec_lo, s8
	s_delay_alu instid0(VALU_DEP_2) | instskip(NEXT) | instid1(VALU_DEP_2)
	v_lshrrev_b64 v[118:119], 21, v[118:119]
	v_cmp_gt_i32_e32 vcc_lo, 32, v30
	v_min_i32_e32 v40, 31, v30
	v_cmp_eq_u32_e64 s8, 0, v30
	s_delay_alu instid0(VALU_DEP_2) | instskip(SKIP_1) | instid1(VALU_DEP_2)
	v_dual_cndmask_b32 v119, 0, v119 :: v_dual_lshlrev_b32 v40, 2, v40
	v_cndmask_b32_e32 v118, 3, v118, vcc_lo
	v_and_b32_e32 v40, 0xfc, v40
	s_delay_alu instid0(VALU_DEP_2) | instskip(NEXT) | instid1(VALU_DEP_2)
	v_cmp_eq_u64_e32 vcc_lo, 0, v[118:119]
	v_and_or_b32 v30, v118, 3, v40
	s_and_b32 s8, s8, vcc_lo
	s_delay_alu instid0(VALU_DEP_1) | instid1(SALU_CYCLE_1)
	v_cndmask_b32_e64 v30, v30, 0, s8
	s_delay_alu instid0(VALU_DEP_1)
	v_or_b32_e32 v44, v30, v3
.LBB2_879:                              ;   in Loop: Header=BB2_681 Depth=2
	s_or_b32 exec_lo, exec_lo, s22
                                        ; implicit-def: $vgpr3
.LBB2_880:                              ;   in Loop: Header=BB2_681 Depth=2
	s_and_not1_saveexec_b32 s8, s21
; %bb.881:                              ;   in Loop: Header=BB2_681 Depth=2
	v_or_b32_e32 v44, 0x7b, v3
; %bb.882:                              ;   in Loop: Header=BB2_681 Depth=2
	s_or_b32 exec_lo, exec_lo, s8
                                        ; implicit-def: $vgpr40
                                        ; implicit-def: $vgpr118_vgpr119
                                        ; implicit-def: $vgpr3
.LBB2_883:                              ;   in Loop: Header=BB2_681 Depth=2
	s_and_not1_saveexec_b32 s8, s20
	s_cbranch_execz .LBB2_889
; %bb.884:                              ;   in Loop: Header=BB2_681 Depth=2
	s_mov_b32 s20, exec_lo
                                        ; implicit-def: $vgpr44
	v_cmpx_ne_u64_e32 0, v[118:119]
	s_xor_b32 s20, exec_lo, s20
; %bb.885:                              ;   in Loop: Header=BB2_681 Depth=2
	v_or_b32_e32 v44, 0x7f, v3
                                        ; implicit-def: $vgpr40
; %bb.886:                              ;   in Loop: Header=BB2_681 Depth=2
	s_and_not1_saveexec_b32 s20, s20
; %bb.887:                              ;   in Loop: Header=BB2_681 Depth=2
	v_cmp_lt_i32_e32 vcc_lo, -1, v40
	v_cndmask_b32_e32 v44, 0xfc, v58, vcc_lo
; %bb.888:                              ;   in Loop: Header=BB2_681 Depth=2
	s_or_b32 exec_lo, exec_lo, s20
.LBB2_889:                              ;   in Loop: Header=BB2_681 Depth=2
	s_delay_alu instid0(SALU_CYCLE_1) | instskip(SKIP_4) | instid1(SALU_CYCLE_1)
	s_or_b32 exec_lo, exec_lo, s8
	v_lshrrev_b32_e32 v118, 24, v2
	v_lshrrev_b32_e32 v30, 24, v54
	v_cmp_lt_u32_e32 vcc_lo, 0xffffff, v2
                                        ; implicit-def: $vgpr3
	s_and_saveexec_b32 s8, s6
	s_xor_b32 s20, exec_lo, s8
	s_cbranch_execz .LBB2_911
; %bb.890:                              ;   in Loop: Header=BB2_681 Depth=2
	v_dual_mov_b32 v119, 0 :: v_dual_mov_b32 v3, 0
	s_and_saveexec_b32 s21, vcc_lo
	s_cbranch_execz .LBB2_900
; %bb.891:                              ;   in Loop: Header=BB2_681 Depth=2
	v_bfrev_b32_e32 v3, 1
	s_mov_b32 s22, exec_lo
	v_cmpx_ne_u32_e32 0x80, v118
	s_cbranch_execz .LBB2_899
; %bb.892:                              ;   in Loop: Header=BB2_681 Depth=2
	v_and_b32_e32 v3, 0x7c000000, v2
	v_bfe_u32 v40, v2, 24, 2
	s_delay_alu instid0(VALU_DEP_2) | instskip(SKIP_1) | instid1(SALU_CYCLE_1)
	v_cmp_ne_u32_e64 s8, 0x7c000000, v3
                                        ; implicit-def: $vgpr3
	s_and_saveexec_b32 s23, s8
	s_xor_b32 s23, exec_lo, s23
	s_cbranch_execz .LBB2_896
; %bb.893:                              ;   in Loop: Header=BB2_681 Depth=2
	v_bfe_u32 v3, v2, 26, 5
	s_mov_b32 s24, exec_lo
	s_delay_alu instid0(VALU_DEP_1)
	v_cmpx_eq_u32_e32 0, v3
; %bb.894:                              ;   in Loop: Header=BB2_681 Depth=2
	v_clz_i32_u32_e32 v3, v40
	s_delay_alu instid0(VALU_DEP_1) | instskip(NEXT) | instid1(VALU_DEP_1)
	v_min_u32_e32 v3, 32, v3
	v_subrev_nc_u32_e32 v40, 29, v3
	s_delay_alu instid0(VALU_DEP_1) | instskip(NEXT) | instid1(VALU_DEP_1)
	v_lshlrev_b64_e32 v[40:41], v40, v[118:119]
	v_dual_sub_nc_u32 v3, 30, v3 :: v_dual_bitop2_b32 v40, 3, v40 bitop3:0x40
; %bb.895:                              ;   in Loop: Header=BB2_681 Depth=2
	s_or_b32 exec_lo, exec_lo, s24
	v_and_b32_e32 v2, 0x80000000, v2
	s_delay_alu instid0(VALU_DEP_1) | instskip(NEXT) | instid1(VALU_DEP_1)
	v_lshl_add_u32 v2, v3, 23, v2
	v_lshl_or_b32 v2, v40, 21, v2
                                        ; implicit-def: $vgpr40
	s_delay_alu instid0(VALU_DEP_1)
	v_add_nc_u32_e32 v3, 0x38000000, v2
.LBB2_896:                              ;   in Loop: Header=BB2_681 Depth=2
	s_and_not1_saveexec_b32 s23, s23
; %bb.897:                              ;   in Loop: Header=BB2_681 Depth=2
	v_cmp_lt_i32_e64 s8, -1, v2
	s_delay_alu instid0(VALU_DEP_1) | instskip(SKIP_1) | instid1(VALU_DEP_1)
	v_cndmask_b32_e64 v2, 0xff800000, v21, s8
	v_cmp_eq_u32_e64 s8, 0, v40
	v_cndmask_b32_e64 v3, 0x7f800001, v2, s8
; %bb.898:                              ;   in Loop: Header=BB2_681 Depth=2
	s_or_b32 exec_lo, exec_lo, s23
.LBB2_899:                              ;   in Loop: Header=BB2_681 Depth=2
	s_delay_alu instid0(SALU_CYCLE_1)
	s_or_b32 exec_lo, exec_lo, s22
.LBB2_900:                              ;   in Loop: Header=BB2_681 Depth=2
	s_delay_alu instid0(SALU_CYCLE_1) | instskip(NEXT) | instid1(SALU_CYCLE_1)
	s_or_b32 exec_lo, exec_lo, s21
	s_mov_b32 s21, exec_lo
	v_cmpx_lt_u32_e32 0xffffff, v54
	s_cbranch_execz .LBB2_910
; %bb.901:                              ;   in Loop: Header=BB2_681 Depth=2
	v_bfrev_b32_e32 v119, 1
	s_mov_b32 s22, exec_lo
	v_cmpx_ne_u32_e32 0x80, v30
	s_cbranch_execz .LBB2_909
; %bb.902:                              ;   in Loop: Header=BB2_681 Depth=2
	v_and_b32_e32 v118, 0x7c000000, v54
	v_bfe_u32 v2, v54, 24, 2
	s_mov_b32 s23, exec_lo
                                        ; implicit-def: $vgpr119
	s_delay_alu instid0(VALU_DEP_2)
	v_cmpx_ne_u32_e32 0x7c000000, v118
	s_xor_b32 s23, exec_lo, s23
	s_cbranch_execz .LBB2_906
; %bb.903:                              ;   in Loop: Header=BB2_681 Depth=2
	v_bfe_u32 v118, v54, 26, 5
	s_mov_b32 s24, exec_lo
	s_delay_alu instid0(VALU_DEP_1)
	v_cmpx_eq_u32_e32 0, v118
; %bb.904:                              ;   in Loop: Header=BB2_681 Depth=2
	v_clz_i32_u32_e32 v2, v2
	s_delay_alu instid0(VALU_DEP_1) | instskip(NEXT) | instid1(VALU_DEP_1)
	v_min_u32_e32 v2, 32, v2
	v_subrev_nc_u32_e32 v118, 29, v2
	s_delay_alu instid0(VALU_DEP_1) | instskip(NEXT) | instid1(VALU_DEP_1)
	v_lshlrev_b64_e32 v[40:41], v118, v[30:31]
	v_dual_sub_nc_u32 v118, 30, v2 :: v_dual_bitop2_b32 v2, 3, v40 bitop3:0x40
; %bb.905:                              ;   in Loop: Header=BB2_681 Depth=2
	s_or_b32 exec_lo, exec_lo, s24
	v_and_b32_e32 v30, 0x80000000, v54
	s_delay_alu instid0(VALU_DEP_1) | instskip(NEXT) | instid1(VALU_DEP_1)
	v_lshl_add_u32 v30, v118, 23, v30
	v_lshl_or_b32 v2, v2, 21, v30
	s_delay_alu instid0(VALU_DEP_1)
	v_add_nc_u32_e32 v119, 0x38000000, v2
                                        ; implicit-def: $vgpr2
.LBB2_906:                              ;   in Loop: Header=BB2_681 Depth=2
	s_and_not1_saveexec_b32 s23, s23
; %bb.907:                              ;   in Loop: Header=BB2_681 Depth=2
	v_cmp_lt_i32_e64 s8, -1, v54
	s_delay_alu instid0(VALU_DEP_1) | instskip(SKIP_1) | instid1(VALU_DEP_1)
	v_cndmask_b32_e64 v30, 0xff800000, v21, s8
	v_cmp_eq_u32_e64 s8, 0, v2
	v_cndmask_b32_e64 v119, 0x7f800001, v30, s8
; %bb.908:                              ;   in Loop: Header=BB2_681 Depth=2
	s_or_b32 exec_lo, exec_lo, s23
.LBB2_909:                              ;   in Loop: Header=BB2_681 Depth=2
	s_delay_alu instid0(SALU_CYCLE_1)
	s_or_b32 exec_lo, exec_lo, s22
.LBB2_910:                              ;   in Loop: Header=BB2_681 Depth=2
	s_delay_alu instid0(SALU_CYCLE_1) | instskip(NEXT) | instid1(VALU_DEP_1)
	s_or_b32 exec_lo, exec_lo, s21
	v_max_num_f32_e32 v2, v119, v119
	v_max_num_f32_e32 v3, v3, v3
                                        ; implicit-def: $vgpr30
                                        ; implicit-def: $vgpr118
	s_delay_alu instid0(VALU_DEP_1)
	v_max_num_f32_e32 v3, v3, v2
.LBB2_911:                              ;   in Loop: Header=BB2_681 Depth=2
	s_and_not1_saveexec_b32 s8, s20
	s_cbranch_execz .LBB2_933
; %bb.912:                              ;   in Loop: Header=BB2_681 Depth=2
	v_dual_mov_b32 v119, 0 :: v_dual_mov_b32 v3, 0
	s_and_saveexec_b32 s20, vcc_lo
	s_cbranch_execz .LBB2_922
; %bb.913:                              ;   in Loop: Header=BB2_681 Depth=2
	v_bfrev_b32_e32 v3, 1
	s_mov_b32 s21, exec_lo
	v_cmpx_ne_u32_e32 0x80, v118
	s_cbranch_execz .LBB2_921
; %bb.914:                              ;   in Loop: Header=BB2_681 Depth=2
	v_and_b32_e32 v3, 0x7c000000, v2
	v_bfe_u32 v40, v2, 24, 2
	s_delay_alu instid0(VALU_DEP_2) | instskip(SKIP_1) | instid1(SALU_CYCLE_1)
	v_cmp_ne_u32_e32 vcc_lo, 0x7c000000, v3
                                        ; implicit-def: $vgpr3
	s_and_saveexec_b32 s22, vcc_lo
	s_xor_b32 s22, exec_lo, s22
	s_cbranch_execz .LBB2_918
; %bb.915:                              ;   in Loop: Header=BB2_681 Depth=2
	v_bfe_u32 v3, v2, 26, 5
	s_mov_b32 s23, exec_lo
	s_delay_alu instid0(VALU_DEP_1)
	v_cmpx_eq_u32_e32 0, v3
; %bb.916:                              ;   in Loop: Header=BB2_681 Depth=2
	v_clz_i32_u32_e32 v3, v40
	s_delay_alu instid0(VALU_DEP_1) | instskip(NEXT) | instid1(VALU_DEP_1)
	v_min_u32_e32 v3, 32, v3
	v_subrev_nc_u32_e32 v40, 29, v3
	s_delay_alu instid0(VALU_DEP_1) | instskip(NEXT) | instid1(VALU_DEP_1)
	v_lshlrev_b64_e32 v[40:41], v40, v[118:119]
	v_dual_sub_nc_u32 v3, 30, v3 :: v_dual_bitop2_b32 v40, 3, v40 bitop3:0x40
; %bb.917:                              ;   in Loop: Header=BB2_681 Depth=2
	s_or_b32 exec_lo, exec_lo, s23
	v_and_b32_e32 v2, 0x80000000, v2
	s_delay_alu instid0(VALU_DEP_1) | instskip(NEXT) | instid1(VALU_DEP_1)
	v_lshl_add_u32 v2, v3, 23, v2
	v_lshl_or_b32 v2, v40, 21, v2
                                        ; implicit-def: $vgpr40
	s_delay_alu instid0(VALU_DEP_1)
	v_add_nc_u32_e32 v3, 0x38000000, v2
.LBB2_918:                              ;   in Loop: Header=BB2_681 Depth=2
	s_and_not1_saveexec_b32 s22, s22
; %bb.919:                              ;   in Loop: Header=BB2_681 Depth=2
	v_cmp_lt_i32_e32 vcc_lo, -1, v2
	v_cndmask_b32_e32 v2, 0xff800000, v21, vcc_lo
	v_cmp_eq_u32_e32 vcc_lo, 0, v40
	s_delay_alu instid0(VALU_DEP_2)
	v_cndmask_b32_e32 v3, 0x7f800001, v2, vcc_lo
; %bb.920:                              ;   in Loop: Header=BB2_681 Depth=2
	s_or_b32 exec_lo, exec_lo, s22
.LBB2_921:                              ;   in Loop: Header=BB2_681 Depth=2
	s_delay_alu instid0(SALU_CYCLE_1)
	s_or_b32 exec_lo, exec_lo, s21
.LBB2_922:                              ;   in Loop: Header=BB2_681 Depth=2
	s_delay_alu instid0(SALU_CYCLE_1) | instskip(NEXT) | instid1(SALU_CYCLE_1)
	s_or_b32 exec_lo, exec_lo, s20
	s_mov_b32 s20, exec_lo
	v_cmpx_lt_u32_e32 0xffffff, v54
	s_cbranch_execz .LBB2_932
; %bb.923:                              ;   in Loop: Header=BB2_681 Depth=2
	v_bfrev_b32_e32 v119, 1
	s_mov_b32 s21, exec_lo
	v_cmpx_ne_u32_e32 0x80, v30
	s_cbranch_execz .LBB2_931
; %bb.924:                              ;   in Loop: Header=BB2_681 Depth=2
	v_and_b32_e32 v118, 0x7c000000, v54
	v_bfe_u32 v2, v54, 24, 2
	s_mov_b32 s22, exec_lo
                                        ; implicit-def: $vgpr119
	s_delay_alu instid0(VALU_DEP_2)
	v_cmpx_ne_u32_e32 0x7c000000, v118
	s_xor_b32 s22, exec_lo, s22
	s_cbranch_execz .LBB2_928
; %bb.925:                              ;   in Loop: Header=BB2_681 Depth=2
	v_bfe_u32 v118, v54, 26, 5
	s_mov_b32 s23, exec_lo
	s_delay_alu instid0(VALU_DEP_1)
	v_cmpx_eq_u32_e32 0, v118
; %bb.926:                              ;   in Loop: Header=BB2_681 Depth=2
	v_clz_i32_u32_e32 v2, v2
	s_delay_alu instid0(VALU_DEP_1) | instskip(NEXT) | instid1(VALU_DEP_1)
	v_min_u32_e32 v2, 32, v2
	v_subrev_nc_u32_e32 v118, 29, v2
	s_delay_alu instid0(VALU_DEP_1) | instskip(NEXT) | instid1(VALU_DEP_1)
	v_lshlrev_b64_e32 v[40:41], v118, v[30:31]
	v_dual_sub_nc_u32 v118, 30, v2 :: v_dual_bitop2_b32 v2, 3, v40 bitop3:0x40
; %bb.927:                              ;   in Loop: Header=BB2_681 Depth=2
	s_or_b32 exec_lo, exec_lo, s23
	v_and_b32_e32 v30, 0x80000000, v54
	s_delay_alu instid0(VALU_DEP_1) | instskip(NEXT) | instid1(VALU_DEP_1)
	v_lshl_add_u32 v30, v118, 23, v30
	v_lshl_or_b32 v2, v2, 21, v30
	s_delay_alu instid0(VALU_DEP_1)
	v_add_nc_u32_e32 v119, 0x38000000, v2
                                        ; implicit-def: $vgpr2
.LBB2_928:                              ;   in Loop: Header=BB2_681 Depth=2
	s_and_not1_saveexec_b32 s22, s22
; %bb.929:                              ;   in Loop: Header=BB2_681 Depth=2
	v_cmp_lt_i32_e32 vcc_lo, -1, v54
	v_cndmask_b32_e32 v30, 0xff800000, v21, vcc_lo
	v_cmp_eq_u32_e32 vcc_lo, 0, v2
	s_delay_alu instid0(VALU_DEP_2)
	v_cndmask_b32_e32 v119, 0x7f800001, v30, vcc_lo
; %bb.930:                              ;   in Loop: Header=BB2_681 Depth=2
	s_or_b32 exec_lo, exec_lo, s22
.LBB2_931:                              ;   in Loop: Header=BB2_681 Depth=2
	s_delay_alu instid0(SALU_CYCLE_1)
	s_or_b32 exec_lo, exec_lo, s21
.LBB2_932:                              ;   in Loop: Header=BB2_681 Depth=2
	s_delay_alu instid0(SALU_CYCLE_1) | instskip(NEXT) | instid1(VALU_DEP_1)
	s_or_b32 exec_lo, exec_lo, s20
	v_max_num_f32_e32 v2, v119, v119
	v_max_num_f32_e32 v3, v3, v3
	s_delay_alu instid0(VALU_DEP_1)
	v_min_num_f32_e32 v3, v3, v2
.LBB2_933:                              ;   in Loop: Header=BB2_681 Depth=2
	s_or_b32 exec_lo, exec_lo, s8
	s_delay_alu instid0(VALU_DEP_1) | instskip(SKIP_3) | instid1(VALU_DEP_2)
	v_and_b32_e32 v118, 0x7f800000, v3
	v_dual_mov_b32 v119, v55 :: v_dual_lshrrev_b32 v2, 24, v3
	v_and_b32_e32 v54, 0x7fffff, v3
                                        ; implicit-def: $vgpr47
	s_mov_b32 s8, exec_lo
	v_cmpx_ne_u64_e32 0x7f800000, v[118:119]
	s_xor_b32 s20, exec_lo, s8
	s_cbranch_execz .LBB2_947
; %bb.934:                              ;   in Loop: Header=BB2_681 Depth=2
	v_and_b32_e32 v118, 0x7fffffff, v3
	v_mov_b32_e32 v119, v55
	v_and_b32_e32 v30, 0x80, v2
                                        ; implicit-def: $vgpr47
	s_mov_b32 s8, exec_lo
	s_delay_alu instid0(VALU_DEP_2)
	v_cmpx_gt_u64_e32 0x47600001, v[118:119]
	s_xor_b32 s21, exec_lo, s8
	s_cbranch_execz .LBB2_944
; %bb.935:                              ;   in Loop: Header=BB2_681 Depth=2
	v_mov_b32_e32 v47, 0
	s_mov_b32 s22, exec_lo
	v_cmpx_ne_u32_e32 0, v3
	s_cbranch_execz .LBB2_943
; %bb.936:                              ;   in Loop: Header=BB2_681 Depth=2
	v_bfe_u32 v40, v3, 23, 8
	v_or_b32_e32 v118, 0x800000, v54
	s_delay_alu instid0(VALU_DEP_2) | instskip(SKIP_1) | instid1(VALU_DEP_2)
	v_sub_nc_u32_e32 v2, 0x71, v40
	v_cmp_gt_u32_e32 vcc_lo, 0x72, v40
	v_cndmask_b32_e32 v2, 0, v2, vcc_lo
	v_cmp_eq_u32_e32 vcc_lo, 0, v40
	s_delay_alu instid0(VALU_DEP_2) | instskip(NEXT) | instid1(VALU_DEP_1)
	v_cndmask_b32_e64 v41, v2, 0x70, vcc_lo
	v_dual_cndmask_b32 v54, v118, v54, vcc_lo :: v_dual_add_nc_u32 v2, 21, v41
	v_add_nc_u32_e32 v119, 20, v41
	s_delay_alu instid0(VALU_DEP_2) | instskip(NEXT) | instid1(VALU_DEP_2)
	v_lshlrev_b64_e64 v[2:3], v2, -1
	v_lshlrev_b64_e64 v[118:119], v119, 1
	s_delay_alu instid0(VALU_DEP_2) | instskip(NEXT) | instid1(VALU_DEP_3)
	v_bfi_b32 v63, v3, 0, 0
	v_bfi_b32 v62, v2, 0, v54
	v_lshrrev_b64 v[2:3], v41, v[54:55]
	s_delay_alu instid0(VALU_DEP_2) | instskip(NEXT) | instid1(VALU_DEP_2)
	v_cmp_eq_u64_e64 s8, v[62:63], v[118:119]
	v_mov_b64_e32 v[118:119], v[2:3]
	s_and_saveexec_b32 s23, s8
; %bb.937:                              ;   in Loop: Header=BB2_681 Depth=2
	v_bfe_u32 v54, v2, 21, 1
	s_delay_alu instid0(VALU_DEP_1) | instskip(NEXT) | instid1(VALU_DEP_1)
	v_add_nc_u64_e32 v[118:119], v[2:3], v[54:55]
	v_add_nc_u64_e32 v[118:119], -1, v[118:119]
; %bb.938:                              ;   in Loop: Header=BB2_681 Depth=2
	s_or_b32 exec_lo, exec_lo, s23
	v_add_nc_u32_e32 v3, 0xffffff81, v40
	v_lshrrev_b32_e32 v54, 23, v2
	s_mov_b32 s8, exec_lo
	s_delay_alu instid0(VALU_DEP_2) | instskip(NEXT) | instid1(VALU_DEP_1)
	v_cndmask_b32_e64 v3, v3, 0xffffff82, vcc_lo
	v_add3_u32 v119, v41, v3, v54
	v_and_b32_e32 v3, 0x1fffff, v118
                                        ; implicit-def: $vgpr118
	s_delay_alu instid0(VALU_DEP_1) | instskip(NEXT) | instid1(VALU_DEP_1)
	v_dual_add_nc_u32 v40, 14, v119 :: v_dual_add_nc_u32 v54, v3, v2
                                        ; implicit-def: $vgpr2_vgpr3
	v_cmpx_ne_u32_e32 0, v40
	s_xor_b32 s8, exec_lo, s8
; %bb.939:                              ;   in Loop: Header=BB2_681 Depth=2
	s_delay_alu instid0(VALU_DEP_2) | instskip(SKIP_1) | instid1(VALU_DEP_1)
	v_cmp_lt_u64_e32 vcc_lo, 0xffffff, v[54:55]
	v_add_nc_u32_e32 v2, 15, v119
	v_cndmask_b32_e32 v118, v40, v2, vcc_lo
	v_cndmask_b32_e64 v2, 0, 1, vcc_lo
	s_delay_alu instid0(VALU_DEP_1)
	v_lshrrev_b64 v[2:3], v2, v[54:55]
; %bb.940:                              ;   in Loop: Header=BB2_681 Depth=2
	s_and_not1_saveexec_b32 s8, s8
; %bb.941:                              ;   in Loop: Header=BB2_681 Depth=2
	v_mov_b64_e32 v[2:3], v[54:55]
	v_bfe_u32 v118, v54, 23, 1
; %bb.942:                              ;   in Loop: Header=BB2_681 Depth=2
	s_or_b32 exec_lo, exec_lo, s8
	s_delay_alu instid0(VALU_DEP_2) | instskip(NEXT) | instid1(VALU_DEP_2)
	v_lshrrev_b64 v[2:3], 21, v[2:3]
	v_cmp_gt_i32_e32 vcc_lo, 32, v118
	v_min_i32_e32 v54, 31, v118
	v_cmp_eq_u32_e64 s8, 0, v118
	s_delay_alu instid0(VALU_DEP_2) | instskip(SKIP_1) | instid1(VALU_DEP_2)
	v_dual_cndmask_b32 v3, 0, v3 :: v_dual_lshlrev_b32 v54, 2, v54
	v_cndmask_b32_e32 v2, 3, v2, vcc_lo
	v_and_b32_e32 v54, 0xfc, v54
	s_delay_alu instid0(VALU_DEP_2) | instskip(NEXT) | instid1(VALU_DEP_2)
	v_cmp_eq_u64_e32 vcc_lo, 0, v[2:3]
	v_and_or_b32 v2, v2, 3, v54
	s_and_b32 s8, s8, vcc_lo
	s_delay_alu instid0(VALU_DEP_1) | instid1(SALU_CYCLE_1)
	v_cndmask_b32_e64 v2, v2, 0, s8
	s_delay_alu instid0(VALU_DEP_1)
	v_or_b32_e32 v47, v2, v30
.LBB2_943:                              ;   in Loop: Header=BB2_681 Depth=2
	s_or_b32 exec_lo, exec_lo, s22
                                        ; implicit-def: $vgpr30
.LBB2_944:                              ;   in Loop: Header=BB2_681 Depth=2
	s_and_not1_saveexec_b32 s8, s21
; %bb.945:                              ;   in Loop: Header=BB2_681 Depth=2
	v_or_b32_e32 v47, 0x7b, v30
; %bb.946:                              ;   in Loop: Header=BB2_681 Depth=2
	s_or_b32 exec_lo, exec_lo, s8
                                        ; implicit-def: $vgpr3
                                        ; implicit-def: $vgpr2
.LBB2_947:                              ;   in Loop: Header=BB2_681 Depth=2
	s_and_not1_saveexec_b32 s8, s20
	s_cbranch_execz .LBB2_953
; %bb.948:                              ;   in Loop: Header=BB2_681 Depth=2
	s_mov_b32 s20, exec_lo
                                        ; implicit-def: $vgpr47
	v_cmpx_ne_u64_e32 0, v[54:55]
	s_xor_b32 s20, exec_lo, s20
; %bb.949:                              ;   in Loop: Header=BB2_681 Depth=2
	v_or_b32_e32 v47, 0x7f, v2
                                        ; implicit-def: $vgpr3
; %bb.950:                              ;   in Loop: Header=BB2_681 Depth=2
	s_and_not1_saveexec_b32 s20, s20
; %bb.951:                              ;   in Loop: Header=BB2_681 Depth=2
	v_cmp_lt_i32_e32 vcc_lo, -1, v3
	v_cndmask_b32_e32 v47, 0xfc, v58, vcc_lo
; %bb.952:                              ;   in Loop: Header=BB2_681 Depth=2
	s_or_b32 exec_lo, exec_lo, s20
.LBB2_953:                              ;   in Loop: Header=BB2_681 Depth=2
	s_delay_alu instid0(SALU_CYCLE_1) | instskip(SKIP_3) | instid1(VALU_DEP_3)
	s_or_b32 exec_lo, exec_lo, s8
	v_alignbit_b32 v54, v45, v46, v61
	v_and_b32_e32 v3, 0xff, v4
	v_bfe_i32 v118, v4, 0, 8
                                        ; implicit-def: $vgpr30
	v_bfe_i32 v2, v54, 0, 8
	s_delay_alu instid0(VALU_DEP_3) | instskip(SKIP_1) | instid1(SALU_CYCLE_1)
	v_cmp_ne_u16_e32 vcc_lo, 0, v3
	s_and_saveexec_b32 s8, s6
	s_xor_b32 s20, exec_lo, s8
	s_cbranch_execz .LBB2_975
; %bb.954:                              ;   in Loop: Header=BB2_681 Depth=2
	v_dual_mov_b32 v30, 0 :: v_dual_mov_b32 v3, 0
	s_and_saveexec_b32 s21, vcc_lo
	s_cbranch_execz .LBB2_964
; %bb.955:                              ;   in Loop: Header=BB2_681 Depth=2
	v_bfrev_b32_e32 v3, 1
	s_mov_b32 s22, exec_lo
	v_cmpx_ne_u16_e32 0xff80, v118
	s_cbranch_execz .LBB2_963
; %bb.956:                              ;   in Loop: Header=BB2_681 Depth=2
	v_and_b32_e32 v3, 0x7c, v4
	v_and_b32_e32 v119, 3, v4
	s_delay_alu instid0(VALU_DEP_2) | instskip(SKIP_1) | instid1(SALU_CYCLE_1)
	v_cmp_ne_u32_e64 s8, 0x7c, v3
                                        ; implicit-def: $vgpr3
	s_and_saveexec_b32 s23, s8
	s_xor_b32 s23, exec_lo, s23
	s_cbranch_execz .LBB2_960
; %bb.957:                              ;   in Loop: Header=BB2_681 Depth=2
	v_bfe_u32 v3, v4, 2, 5
	s_mov_b32 s24, exec_lo
	s_delay_alu instid0(VALU_DEP_1)
	v_cmpx_eq_u32_e32 0, v3
; %bb.958:                              ;   in Loop: Header=BB2_681 Depth=2
	v_clz_i32_u32_e32 v3, v119
	s_delay_alu instid0(VALU_DEP_1) | instskip(NEXT) | instid1(VALU_DEP_1)
	v_min_u32_e32 v3, 32, v3
	v_subrev_nc_u32_e32 v118, 29, v3
	s_delay_alu instid0(VALU_DEP_1) | instskip(NEXT) | instid1(VALU_DEP_1)
	v_lshlrev_b64_e32 v[118:119], v118, v[4:5]
	v_dual_sub_nc_u32 v3, 30, v3 :: v_dual_bitop2_b32 v119, 3, v118 bitop3:0x40
; %bb.959:                              ;   in Loop: Header=BB2_681 Depth=2
	s_or_b32 exec_lo, exec_lo, s24
	v_lshlrev_b32_e32 v118, 24, v4
	s_delay_alu instid0(VALU_DEP_1) | instskip(NEXT) | instid1(VALU_DEP_1)
	v_and_b32_e32 v118, 0x80000000, v118
	v_lshl_add_u32 v3, v3, 23, v118
                                        ; implicit-def: $vgpr118
	s_delay_alu instid0(VALU_DEP_1) | instskip(NEXT) | instid1(VALU_DEP_1)
	v_lshl_or_b32 v3, v119, 21, v3
                                        ; implicit-def: $vgpr119
	v_add_nc_u32_e32 v3, 0x38000000, v3
.LBB2_960:                              ;   in Loop: Header=BB2_681 Depth=2
	s_and_not1_saveexec_b32 s23, s23
; %bb.961:                              ;   in Loop: Header=BB2_681 Depth=2
	v_cmp_lt_i16_e64 s8, -1, v118
	s_delay_alu instid0(VALU_DEP_1) | instskip(SKIP_1) | instid1(VALU_DEP_1)
	v_cndmask_b32_e64 v3, 0xff800000, v21, s8
	v_cmp_eq_u32_e64 s8, 0, v119
	v_cndmask_b32_e64 v3, 0x7f800001, v3, s8
; %bb.962:                              ;   in Loop: Header=BB2_681 Depth=2
	s_or_b32 exec_lo, exec_lo, s23
.LBB2_963:                              ;   in Loop: Header=BB2_681 Depth=2
	s_delay_alu instid0(SALU_CYCLE_1)
	s_or_b32 exec_lo, exec_lo, s22
.LBB2_964:                              ;   in Loop: Header=BB2_681 Depth=2
	s_delay_alu instid0(SALU_CYCLE_1) | instskip(NEXT) | instid1(SALU_CYCLE_1)
	s_or_b32 exec_lo, exec_lo, s21
	s_mov_b32 s21, exec_lo
	v_cmpx_ne_u16_e32 0, v2
	s_cbranch_execz .LBB2_974
; %bb.965:                              ;   in Loop: Header=BB2_681 Depth=2
	v_bfrev_b32_e32 v30, 1
	s_mov_b32 s22, exec_lo
	v_cmpx_ne_u16_e32 0xff80, v2
	s_cbranch_execz .LBB2_973
; %bb.966:                              ;   in Loop: Header=BB2_681 Depth=2
	v_and_b32_e32 v30, 0x7c, v54
	v_and_b32_e32 v118, 3, v54
	s_delay_alu instid0(VALU_DEP_2) | instskip(SKIP_1) | instid1(SALU_CYCLE_1)
	v_cmp_ne_u32_e64 s8, 0x7c, v30
                                        ; implicit-def: $vgpr30
	s_and_saveexec_b32 s23, s8
	s_xor_b32 s23, exec_lo, s23
	s_cbranch_execz .LBB2_970
; %bb.967:                              ;   in Loop: Header=BB2_681 Depth=2
	v_bfe_u32 v2, v54, 2, 5
	s_mov_b32 s24, exec_lo
	s_delay_alu instid0(VALU_DEP_1)
	v_cmpx_eq_u32_e32 0, v2
; %bb.968:                              ;   in Loop: Header=BB2_681 Depth=2
	v_clz_i32_u32_e32 v2, v118
	s_delay_alu instid0(VALU_DEP_1) | instskip(NEXT) | instid1(VALU_DEP_1)
	v_min_u32_e32 v2, 32, v2
	v_subrev_nc_u32_e32 v30, 29, v2
	v_sub_nc_u32_e32 v2, 30, v2
	s_delay_alu instid0(VALU_DEP_2) | instskip(NEXT) | instid1(VALU_DEP_1)
	v_lshlrev_b64_e32 v[118:119], v30, v[54:55]
	v_and_b32_e32 v118, 3, v118
; %bb.969:                              ;   in Loop: Header=BB2_681 Depth=2
	s_or_b32 exec_lo, exec_lo, s24
	v_lshlrev_b32_e32 v30, 24, v54
	s_delay_alu instid0(VALU_DEP_1) | instskip(NEXT) | instid1(VALU_DEP_1)
	v_and_b32_e32 v30, 0x80000000, v30
	v_lshl_add_u32 v2, v2, 23, v30
	s_delay_alu instid0(VALU_DEP_1) | instskip(NEXT) | instid1(VALU_DEP_1)
	v_lshl_or_b32 v2, v118, 21, v2
                                        ; implicit-def: $vgpr118
	v_add_nc_u32_e32 v30, 0x38000000, v2
                                        ; implicit-def: $vgpr2
.LBB2_970:                              ;   in Loop: Header=BB2_681 Depth=2
	s_and_not1_saveexec_b32 s23, s23
; %bb.971:                              ;   in Loop: Header=BB2_681 Depth=2
	v_cmp_lt_i16_e64 s8, -1, v2
	s_delay_alu instid0(VALU_DEP_1) | instskip(SKIP_1) | instid1(VALU_DEP_1)
	v_cndmask_b32_e64 v2, 0xff800000, v21, s8
	v_cmp_eq_u32_e64 s8, 0, v118
	v_cndmask_b32_e64 v30, 0x7f800001, v2, s8
; %bb.972:                              ;   in Loop: Header=BB2_681 Depth=2
	s_or_b32 exec_lo, exec_lo, s23
.LBB2_973:                              ;   in Loop: Header=BB2_681 Depth=2
	s_delay_alu instid0(SALU_CYCLE_1)
	s_or_b32 exec_lo, exec_lo, s22
.LBB2_974:                              ;   in Loop: Header=BB2_681 Depth=2
	s_delay_alu instid0(SALU_CYCLE_1) | instskip(NEXT) | instid1(VALU_DEP_1)
	s_or_b32 exec_lo, exec_lo, s21
	v_dual_max_num_f32 v2, v30, v30 :: v_dual_max_num_f32 v3, v3, v3
                                        ; implicit-def: $vgpr118
	s_delay_alu instid0(VALU_DEP_1)
	v_max_num_f32_e32 v30, v3, v2
                                        ; implicit-def: $vgpr2
.LBB2_975:                              ;   in Loop: Header=BB2_681 Depth=2
	s_and_not1_saveexec_b32 s8, s20
	s_cbranch_execz .LBB2_997
; %bb.976:                              ;   in Loop: Header=BB2_681 Depth=2
	v_dual_mov_b32 v30, 0 :: v_dual_mov_b32 v3, 0
	s_and_saveexec_b32 s20, vcc_lo
	s_cbranch_execz .LBB2_986
; %bb.977:                              ;   in Loop: Header=BB2_681 Depth=2
	v_bfrev_b32_e32 v3, 1
	s_mov_b32 s21, exec_lo
	v_cmpx_ne_u16_e32 0xff80, v118
	s_cbranch_execz .LBB2_985
; %bb.978:                              ;   in Loop: Header=BB2_681 Depth=2
	v_and_b32_e32 v3, 0x7c, v4
	v_and_b32_e32 v119, 3, v4
	s_delay_alu instid0(VALU_DEP_2) | instskip(SKIP_1) | instid1(SALU_CYCLE_1)
	v_cmp_ne_u32_e32 vcc_lo, 0x7c, v3
                                        ; implicit-def: $vgpr3
	s_and_saveexec_b32 s22, vcc_lo
	s_xor_b32 s22, exec_lo, s22
	s_cbranch_execz .LBB2_982
; %bb.979:                              ;   in Loop: Header=BB2_681 Depth=2
	v_bfe_u32 v3, v4, 2, 5
	s_mov_b32 s23, exec_lo
	s_delay_alu instid0(VALU_DEP_1)
	v_cmpx_eq_u32_e32 0, v3
; %bb.980:                              ;   in Loop: Header=BB2_681 Depth=2
	v_clz_i32_u32_e32 v3, v119
	s_delay_alu instid0(VALU_DEP_1) | instskip(NEXT) | instid1(VALU_DEP_1)
	v_min_u32_e32 v3, 32, v3
	v_subrev_nc_u32_e32 v118, 29, v3
	s_delay_alu instid0(VALU_DEP_1) | instskip(NEXT) | instid1(VALU_DEP_1)
	v_lshlrev_b64_e32 v[118:119], v118, v[4:5]
	v_dual_sub_nc_u32 v3, 30, v3 :: v_dual_bitop2_b32 v119, 3, v118 bitop3:0x40
; %bb.981:                              ;   in Loop: Header=BB2_681 Depth=2
	s_or_b32 exec_lo, exec_lo, s23
	v_lshlrev_b32_e32 v5, 24, v4
                                        ; implicit-def: $vgpr118
	s_delay_alu instid0(VALU_DEP_1) | instskip(NEXT) | instid1(VALU_DEP_1)
	v_and_b32_e32 v5, 0x80000000, v5
	v_lshl_add_u32 v3, v3, 23, v5
	s_delay_alu instid0(VALU_DEP_1) | instskip(NEXT) | instid1(VALU_DEP_1)
	v_lshl_or_b32 v3, v119, 21, v3
                                        ; implicit-def: $vgpr119
	v_add_nc_u32_e32 v3, 0x38000000, v3
.LBB2_982:                              ;   in Loop: Header=BB2_681 Depth=2
	s_and_not1_saveexec_b32 s22, s22
; %bb.983:                              ;   in Loop: Header=BB2_681 Depth=2
	v_cmp_lt_i16_e32 vcc_lo, -1, v118
	v_cndmask_b32_e32 v3, 0xff800000, v21, vcc_lo
	v_cmp_eq_u32_e32 vcc_lo, 0, v119
	s_delay_alu instid0(VALU_DEP_2)
	v_cndmask_b32_e32 v3, 0x7f800001, v3, vcc_lo
; %bb.984:                              ;   in Loop: Header=BB2_681 Depth=2
	s_or_b32 exec_lo, exec_lo, s22
.LBB2_985:                              ;   in Loop: Header=BB2_681 Depth=2
	s_delay_alu instid0(SALU_CYCLE_1)
	s_or_b32 exec_lo, exec_lo, s21
.LBB2_986:                              ;   in Loop: Header=BB2_681 Depth=2
	s_delay_alu instid0(SALU_CYCLE_1) | instskip(NEXT) | instid1(SALU_CYCLE_1)
	s_or_b32 exec_lo, exec_lo, s20
	s_mov_b32 s20, exec_lo
	v_cmpx_ne_u16_e32 0, v2
	s_cbranch_execz .LBB2_996
; %bb.987:                              ;   in Loop: Header=BB2_681 Depth=2
	v_bfrev_b32_e32 v30, 1
	s_mov_b32 s21, exec_lo
	v_cmpx_ne_u16_e32 0xff80, v2
	s_cbranch_execz .LBB2_995
; %bb.988:                              ;   in Loop: Header=BB2_681 Depth=2
	v_and_b32_e32 v30, 0x7c, v54
	v_and_b32_e32 v5, 3, v54
	s_delay_alu instid0(VALU_DEP_2) | instskip(SKIP_1) | instid1(SALU_CYCLE_1)
	v_cmp_ne_u32_e32 vcc_lo, 0x7c, v30
                                        ; implicit-def: $vgpr30
	s_and_saveexec_b32 s22, vcc_lo
	s_xor_b32 s22, exec_lo, s22
	s_cbranch_execz .LBB2_992
; %bb.989:                              ;   in Loop: Header=BB2_681 Depth=2
	v_bfe_u32 v2, v54, 2, 5
	s_mov_b32 s23, exec_lo
	s_delay_alu instid0(VALU_DEP_1)
	v_cmpx_eq_u32_e32 0, v2
; %bb.990:                              ;   in Loop: Header=BB2_681 Depth=2
	v_clz_i32_u32_e32 v2, v5
	s_delay_alu instid0(VALU_DEP_1) | instskip(NEXT) | instid1(VALU_DEP_1)
	v_min_u32_e32 v2, 32, v2
	v_subrev_nc_u32_e32 v5, 29, v2
	v_sub_nc_u32_e32 v2, 30, v2
	s_delay_alu instid0(VALU_DEP_2) | instskip(NEXT) | instid1(VALU_DEP_1)
	v_lshlrev_b64_e32 v[118:119], v5, v[54:55]
	v_and_b32_e32 v5, 3, v118
; %bb.991:                              ;   in Loop: Header=BB2_681 Depth=2
	s_or_b32 exec_lo, exec_lo, s23
	v_lshlrev_b32_e32 v30, 24, v54
	s_delay_alu instid0(VALU_DEP_1) | instskip(NEXT) | instid1(VALU_DEP_1)
	v_and_b32_e32 v30, 0x80000000, v30
	v_lshl_add_u32 v2, v2, 23, v30
	s_delay_alu instid0(VALU_DEP_1) | instskip(NEXT) | instid1(VALU_DEP_1)
	v_lshl_or_b32 v2, v5, 21, v2
                                        ; implicit-def: $vgpr5
	v_add_nc_u32_e32 v30, 0x38000000, v2
                                        ; implicit-def: $vgpr2
.LBB2_992:                              ;   in Loop: Header=BB2_681 Depth=2
	s_and_not1_saveexec_b32 s22, s22
; %bb.993:                              ;   in Loop: Header=BB2_681 Depth=2
	v_cmp_lt_i16_e32 vcc_lo, -1, v2
	v_cndmask_b32_e32 v2, 0xff800000, v21, vcc_lo
	v_cmp_eq_u32_e32 vcc_lo, 0, v5
	s_delay_alu instid0(VALU_DEP_2)
	v_cndmask_b32_e32 v30, 0x7f800001, v2, vcc_lo
; %bb.994:                              ;   in Loop: Header=BB2_681 Depth=2
	s_or_b32 exec_lo, exec_lo, s22
.LBB2_995:                              ;   in Loop: Header=BB2_681 Depth=2
	s_delay_alu instid0(SALU_CYCLE_1)
	s_or_b32 exec_lo, exec_lo, s21
.LBB2_996:                              ;   in Loop: Header=BB2_681 Depth=2
	s_delay_alu instid0(SALU_CYCLE_1) | instskip(NEXT) | instid1(VALU_DEP_1)
	s_or_b32 exec_lo, exec_lo, s20
	v_dual_max_num_f32 v2, v30, v30 :: v_dual_max_num_f32 v3, v3, v3
	s_delay_alu instid0(VALU_DEP_1)
	v_min_num_f32_e32 v30, v3, v2
.LBB2_997:                              ;   in Loop: Header=BB2_681 Depth=2
	s_or_b32 exec_lo, exec_lo, s8
	s_delay_alu instid0(VALU_DEP_1) | instskip(SKIP_4) | instid1(VALU_DEP_3)
	v_and_b32_e32 v118, 0x7f800000, v30
	v_dual_mov_b32 v119, v55 :: v_dual_mov_b32 v3, v55
	v_and_b32_e32 v2, 0x7fffff, v30
	v_lshrrev_b32_e32 v5, 24, v30
                                        ; implicit-def: $vgpr45
	s_mov_b32 s8, exec_lo
	v_cmpx_ne_u64_e32 0x7f800000, v[118:119]
	s_xor_b32 s20, exec_lo, s8
	s_cbranch_execz .LBB2_1011
; %bb.998:                              ;   in Loop: Header=BB2_681 Depth=2
	v_and_b32_e32 v118, 0x7fffffff, v30
	v_mov_b32_e32 v119, v55
	v_and_b32_e32 v5, 0x80, v5
                                        ; implicit-def: $vgpr45
	s_mov_b32 s8, exec_lo
	s_delay_alu instid0(VALU_DEP_2)
	v_cmpx_gt_u64_e32 0x47600001, v[118:119]
	s_xor_b32 s21, exec_lo, s8
	s_cbranch_execz .LBB2_1008
; %bb.999:                              ;   in Loop: Header=BB2_681 Depth=2
	v_mov_b32_e32 v45, 0
	s_mov_b32 s22, exec_lo
	v_cmpx_ne_u32_e32 0, v30
	s_cbranch_execz .LBB2_1007
; %bb.1000:                             ;   in Loop: Header=BB2_681 Depth=2
	v_bfe_u32 v30, v30, 23, 8
	v_or_b32_e32 v41, 0x800000, v2
	s_delay_alu instid0(VALU_DEP_2) | instskip(SKIP_1) | instid1(VALU_DEP_2)
	v_sub_nc_u32_e32 v118, 0x71, v30
	v_cmp_gt_u32_e32 vcc_lo, 0x72, v30
	v_cndmask_b32_e32 v118, 0, v118, vcc_lo
	v_cmp_eq_u32_e32 vcc_lo, 0, v30
	s_delay_alu instid0(VALU_DEP_2) | instskip(NEXT) | instid1(VALU_DEP_1)
	v_cndmask_b32_e64 v40, v118, 0x70, vcc_lo
	v_dual_cndmask_b32 v2, v41, v2, vcc_lo :: v_dual_add_nc_u32 v118, 21, v40
	v_add_nc_u32_e32 v45, 20, v40
	s_delay_alu instid0(VALU_DEP_2) | instskip(NEXT) | instid1(VALU_DEP_2)
	v_lshlrev_b64_e64 v[118:119], v118, -1
	v_lshlrev_b64_e64 v[62:63], v45, 1
	s_delay_alu instid0(VALU_DEP_2) | instskip(SKIP_1) | instid1(VALU_DEP_4)
	v_bfi_b32 v118, v118, 0, v2
	v_lshrrev_b64 v[2:3], v40, v[2:3]
	v_bfi_b32 v119, v119, 0, 0
	s_delay_alu instid0(VALU_DEP_1) | instskip(NEXT) | instid1(VALU_DEP_3)
	v_cmp_eq_u64_e64 s8, v[118:119], v[62:63]
	v_mov_b64_e32 v[118:119], v[2:3]
	s_and_saveexec_b32 s23, s8
; %bb.1001:                             ;   in Loop: Header=BB2_681 Depth=2
	v_bfe_u32 v118, v2, 21, 1
	v_mov_b32_e32 v119, v55
	s_delay_alu instid0(VALU_DEP_1) | instskip(NEXT) | instid1(VALU_DEP_1)
	v_add_nc_u64_e32 v[118:119], v[2:3], v[118:119]
	v_add_nc_u64_e32 v[118:119], -1, v[118:119]
; %bb.1002:                             ;   in Loop: Header=BB2_681 Depth=2
	s_or_b32 exec_lo, exec_lo, s23
	v_add_nc_u32_e32 v3, 0xffffff81, v30
	v_lshrrev_b32_e32 v30, 23, v2
	s_mov_b32 s8, exec_lo
	s_delay_alu instid0(VALU_DEP_2) | instskip(NEXT) | instid1(VALU_DEP_1)
	v_cndmask_b32_e64 v3, v3, 0xffffff82, vcc_lo
	v_add3_u32 v119, v40, v3, v30
	v_and_b32_e32 v3, 0x1fffff, v118
                                        ; implicit-def: $vgpr30
	s_delay_alu instid0(VALU_DEP_1) | instskip(SKIP_1) | instid1(VALU_DEP_2)
	v_dual_add_nc_u32 v118, 14, v119 :: v_dual_add_nc_u32 v2, v3, v2
	v_mov_b32_e32 v3, v55
	v_cmpx_ne_u32_e32 0, v118
	s_xor_b32 s8, exec_lo, s8
; %bb.1003:                             ;   in Loop: Header=BB2_681 Depth=2
	s_delay_alu instid0(VALU_DEP_2) | instskip(SKIP_1) | instid1(VALU_DEP_1)
	v_cmp_lt_u64_e32 vcc_lo, 0xffffff, v[2:3]
	v_add_nc_u32_e32 v30, 15, v119
	v_cndmask_b32_e32 v30, v118, v30, vcc_lo
	v_cndmask_b32_e64 v118, 0, 1, vcc_lo
	s_delay_alu instid0(VALU_DEP_1)
	v_lshrrev_b64 v[2:3], v118, v[2:3]
; %bb.1004:                             ;   in Loop: Header=BB2_681 Depth=2
	s_and_not1_saveexec_b32 s8, s8
; %bb.1005:                             ;   in Loop: Header=BB2_681 Depth=2
	s_delay_alu instid0(VALU_DEP_1)
	v_bfe_u32 v30, v2, 23, 1
; %bb.1006:                             ;   in Loop: Header=BB2_681 Depth=2
	s_or_b32 exec_lo, exec_lo, s8
	s_delay_alu instid0(VALU_DEP_2) | instskip(NEXT) | instid1(VALU_DEP_2)
	v_lshrrev_b64 v[2:3], 21, v[2:3]
	v_cmp_gt_i32_e32 vcc_lo, 32, v30
	v_min_i32_e32 v118, 31, v30
	v_cmp_eq_u32_e64 s8, 0, v30
	s_delay_alu instid0(VALU_DEP_2) | instskip(SKIP_1) | instid1(VALU_DEP_2)
	v_dual_cndmask_b32 v3, 0, v3 :: v_dual_lshlrev_b32 v118, 2, v118
	v_cndmask_b32_e32 v2, 3, v2, vcc_lo
	v_and_b32_e32 v118, 0xfc, v118
	s_delay_alu instid0(VALU_DEP_2) | instskip(NEXT) | instid1(VALU_DEP_2)
	v_cmp_eq_u64_e32 vcc_lo, 0, v[2:3]
	v_and_or_b32 v2, v2, 3, v118
	s_and_b32 s8, s8, vcc_lo
	s_delay_alu instid0(VALU_DEP_1) | instid1(SALU_CYCLE_1)
	v_cndmask_b32_e64 v2, v2, 0, s8
	s_delay_alu instid0(VALU_DEP_1)
	v_or_b32_e32 v45, v2, v5
.LBB2_1007:                             ;   in Loop: Header=BB2_681 Depth=2
	s_or_b32 exec_lo, exec_lo, s22
                                        ; implicit-def: $vgpr5
.LBB2_1008:                             ;   in Loop: Header=BB2_681 Depth=2
	s_and_not1_saveexec_b32 s8, s21
; %bb.1009:                             ;   in Loop: Header=BB2_681 Depth=2
	v_or_b32_e32 v45, 0x7b, v5
; %bb.1010:                             ;   in Loop: Header=BB2_681 Depth=2
	s_or_b32 exec_lo, exec_lo, s8
                                        ; implicit-def: $vgpr30
                                        ; implicit-def: $vgpr2_vgpr3
                                        ; implicit-def: $vgpr5
.LBB2_1011:                             ;   in Loop: Header=BB2_681 Depth=2
	s_and_not1_saveexec_b32 s8, s20
	s_cbranch_execz .LBB2_1017
; %bb.1012:                             ;   in Loop: Header=BB2_681 Depth=2
	s_mov_b32 s20, exec_lo
                                        ; implicit-def: $vgpr45
	v_cmpx_ne_u64_e32 0, v[2:3]
	s_xor_b32 s20, exec_lo, s20
; %bb.1013:                             ;   in Loop: Header=BB2_681 Depth=2
	v_or_b32_e32 v45, 0x7f, v5
                                        ; implicit-def: $vgpr30
; %bb.1014:                             ;   in Loop: Header=BB2_681 Depth=2
	s_and_not1_saveexec_b32 s20, s20
; %bb.1015:                             ;   in Loop: Header=BB2_681 Depth=2
	v_cmp_lt_i32_e32 vcc_lo, -1, v30
	v_cndmask_b32_e32 v45, 0xfc, v58, vcc_lo
; %bb.1016:                             ;   in Loop: Header=BB2_681 Depth=2
	s_or_b32 exec_lo, exec_lo, s20
.LBB2_1017:                             ;   in Loop: Header=BB2_681 Depth=2
	s_delay_alu instid0(SALU_CYCLE_1) | instskip(SKIP_2) | instid1(VALU_DEP_2)
	s_or_b32 exec_lo, exec_lo, s8
	v_lshrrev_b16 v118, 8, v4
	v_lshrrev_b16 v2, 8, v54
                                        ; implicit-def: $vgpr30
	v_and_b32_e32 v119, 0xffff, v118
	v_cmp_ne_u16_e32 vcc_lo, 0, v118
	s_and_saveexec_b32 s8, s6
	s_delay_alu instid0(SALU_CYCLE_1)
	s_xor_b32 s20, exec_lo, s8
	s_cbranch_execz .LBB2_1039
; %bb.1018:                             ;   in Loop: Header=BB2_681 Depth=2
	v_dual_mov_b32 v3, 0 :: v_dual_mov_b32 v5, 0
	s_and_saveexec_b32 s21, vcc_lo
	s_cbranch_execz .LBB2_1028
; %bb.1019:                             ;   in Loop: Header=BB2_681 Depth=2
	v_bfrev_b32_e32 v5, 1
	s_mov_b32 s22, exec_lo
	v_cmpx_ne_u16_e32 0x80, v118
	s_cbranch_execz .LBB2_1027
; %bb.1020:                             ;   in Loop: Header=BB2_681 Depth=2
	v_and_b32_e32 v5, 0x7c, v119
	v_and_b32_e32 v30, 3, v119
	s_delay_alu instid0(VALU_DEP_2) | instskip(SKIP_1) | instid1(SALU_CYCLE_1)
	v_cmp_ne_u32_e64 s8, 0x7c, v5
                                        ; implicit-def: $vgpr5
	s_and_saveexec_b32 s23, s8
	s_xor_b32 s23, exec_lo, s23
	s_cbranch_execz .LBB2_1024
; %bb.1021:                             ;   in Loop: Header=BB2_681 Depth=2
	v_bfe_u32 v5, v119, 2, 5
	s_mov_b32 s24, exec_lo
	s_delay_alu instid0(VALU_DEP_1)
	v_cmpx_eq_u32_e32 0, v5
	s_cbranch_execz .LBB2_1023
; %bb.1022:                             ;   in Loop: Header=BB2_681 Depth=2
	v_clz_i32_u32_e32 v5, v30
	s_delay_alu instid0(VALU_DEP_1) | instskip(SKIP_1) | instid1(VALU_DEP_2)
	v_min_u32_e32 v5, 32, v5
	v_mov_b32_e32 v119, v55
	v_subrev_nc_u32_e32 v30, 29, v5
	v_sub_nc_u32_e32 v5, 30, v5
	s_delay_alu instid0(VALU_DEP_2) | instskip(NEXT) | instid1(VALU_DEP_1)
	v_lshlrev_b64_e32 v[118:119], v30, v[118:119]
	v_and_b32_e32 v30, 3, v118
.LBB2_1023:                             ;   in Loop: Header=BB2_681 Depth=2
	s_or_b32 exec_lo, exec_lo, s24
	v_lshlrev_b32_e32 v118, 16, v4
	s_delay_alu instid0(VALU_DEP_1) | instskip(NEXT) | instid1(VALU_DEP_1)
	v_and_b32_e32 v118, 0x80000000, v118
	v_lshl_add_u32 v5, v5, 23, v118
	s_delay_alu instid0(VALU_DEP_1) | instskip(NEXT) | instid1(VALU_DEP_1)
	v_lshl_or_b32 v5, v30, 21, v5
                                        ; implicit-def: $vgpr30
	v_add_nc_u32_e32 v5, 0x38000000, v5
.LBB2_1024:                             ;   in Loop: Header=BB2_681 Depth=2
	s_and_not1_saveexec_b32 s23, s23
; %bb.1025:                             ;   in Loop: Header=BB2_681 Depth=2
	v_cmp_lt_i16_e64 s8, -1, v4
	s_delay_alu instid0(VALU_DEP_1) | instskip(SKIP_1) | instid1(VALU_DEP_1)
	v_cndmask_b32_e64 v5, 0xff800000, v21, s8
	v_cmp_eq_u32_e64 s8, 0, v30
	v_cndmask_b32_e64 v5, 0x7f800001, v5, s8
; %bb.1026:                             ;   in Loop: Header=BB2_681 Depth=2
	s_or_b32 exec_lo, exec_lo, s23
.LBB2_1027:                             ;   in Loop: Header=BB2_681 Depth=2
	s_delay_alu instid0(SALU_CYCLE_1)
	s_or_b32 exec_lo, exec_lo, s22
.LBB2_1028:                             ;   in Loop: Header=BB2_681 Depth=2
	s_delay_alu instid0(SALU_CYCLE_1) | instskip(NEXT) | instid1(SALU_CYCLE_1)
	s_or_b32 exec_lo, exec_lo, s21
	s_mov_b32 s21, exec_lo
	v_cmpx_ne_u16_e32 0, v2
	s_cbranch_execz .LBB2_1038
; %bb.1029:                             ;   in Loop: Header=BB2_681 Depth=2
	v_bfrev_b32_e32 v3, 1
	s_mov_b32 s22, exec_lo
	v_cmpx_ne_u16_e32 0x80, v2
	s_cbranch_execz .LBB2_1037
; %bb.1030:                             ;   in Loop: Header=BB2_681 Depth=2
	v_and_b32_e32 v118, 0xffff, v2
	s_delay_alu instid0(VALU_DEP_1) | instskip(SKIP_1) | instid1(VALU_DEP_2)
	v_and_b32_e32 v3, 0x7c, v118
	v_and_b32_e32 v30, 3, v118
	v_cmp_ne_u32_e64 s8, 0x7c, v3
                                        ; implicit-def: $vgpr3
	s_and_saveexec_b32 s23, s8
	s_delay_alu instid0(SALU_CYCLE_1)
	s_xor_b32 s23, exec_lo, s23
	s_cbranch_execz .LBB2_1034
; %bb.1031:                             ;   in Loop: Header=BB2_681 Depth=2
	v_bfe_u32 v3, v118, 2, 5
	s_mov_b32 s24, exec_lo
	s_delay_alu instid0(VALU_DEP_1)
	v_cmpx_eq_u32_e32 0, v3
	s_cbranch_execz .LBB2_1033
; %bb.1032:                             ;   in Loop: Header=BB2_681 Depth=2
	v_clz_i32_u32_e32 v3, v30
	s_delay_alu instid0(VALU_DEP_1) | instskip(SKIP_1) | instid1(VALU_DEP_2)
	v_min_u32_e32 v30, 32, v3
	v_mov_b32_e32 v3, v55
	v_subrev_nc_u32_e32 v118, 29, v30
	s_delay_alu instid0(VALU_DEP_1) | instskip(SKIP_1) | instid1(VALU_DEP_2)
	v_lshlrev_b64_e32 v[2:3], v118, v[2:3]
	v_sub_nc_u32_e32 v3, 30, v30
	v_and_b32_e32 v30, 3, v2
.LBB2_1033:                             ;   in Loop: Header=BB2_681 Depth=2
	s_or_b32 exec_lo, exec_lo, s24
	v_lshlrev_b32_e32 v2, 16, v54
	s_delay_alu instid0(VALU_DEP_1) | instskip(NEXT) | instid1(VALU_DEP_1)
	v_and_b32_e32 v2, 0x80000000, v2
	v_lshl_add_u32 v2, v3, 23, v2
	s_delay_alu instid0(VALU_DEP_1) | instskip(NEXT) | instid1(VALU_DEP_1)
	v_lshl_or_b32 v2, v30, 21, v2
                                        ; implicit-def: $vgpr30
	v_add_nc_u32_e32 v3, 0x38000000, v2
.LBB2_1034:                             ;   in Loop: Header=BB2_681 Depth=2
	s_and_not1_saveexec_b32 s23, s23
; %bb.1035:                             ;   in Loop: Header=BB2_681 Depth=2
	v_cmp_lt_i16_e64 s8, -1, v54
	s_delay_alu instid0(VALU_DEP_1) | instskip(SKIP_1) | instid1(VALU_DEP_1)
	v_cndmask_b32_e64 v2, 0xff800000, v21, s8
	v_cmp_eq_u32_e64 s8, 0, v30
	v_cndmask_b32_e64 v3, 0x7f800001, v2, s8
; %bb.1036:                             ;   in Loop: Header=BB2_681 Depth=2
	s_or_b32 exec_lo, exec_lo, s23
.LBB2_1037:                             ;   in Loop: Header=BB2_681 Depth=2
	s_delay_alu instid0(SALU_CYCLE_1)
	s_or_b32 exec_lo, exec_lo, s22
.LBB2_1038:                             ;   in Loop: Header=BB2_681 Depth=2
	s_delay_alu instid0(SALU_CYCLE_1) | instskip(NEXT) | instid1(VALU_DEP_1)
	s_or_b32 exec_lo, exec_lo, s21
	v_dual_max_num_f32 v2, v3, v3 :: v_dual_max_num_f32 v3, v5, v5
                                        ; implicit-def: $vgpr118
                                        ; implicit-def: $vgpr119
	s_delay_alu instid0(VALU_DEP_1)
	v_max_num_f32_e32 v30, v3, v2
                                        ; implicit-def: $vgpr2
.LBB2_1039:                             ;   in Loop: Header=BB2_681 Depth=2
	s_and_not1_saveexec_b32 s8, s20
	s_cbranch_execz .LBB2_1061
; %bb.1040:                             ;   in Loop: Header=BB2_681 Depth=2
	v_dual_mov_b32 v3, 0 :: v_dual_mov_b32 v5, 0
	s_and_saveexec_b32 s20, vcc_lo
	s_cbranch_execz .LBB2_1050
; %bb.1041:                             ;   in Loop: Header=BB2_681 Depth=2
	v_bfrev_b32_e32 v5, 1
	s_mov_b32 s21, exec_lo
	v_cmpx_ne_u16_e32 0x80, v118
	s_cbranch_execz .LBB2_1049
; %bb.1042:                             ;   in Loop: Header=BB2_681 Depth=2
	v_and_b32_e32 v5, 0x7c, v119
	v_and_b32_e32 v30, 3, v119
	s_delay_alu instid0(VALU_DEP_2) | instskip(SKIP_1) | instid1(SALU_CYCLE_1)
	v_cmp_ne_u32_e32 vcc_lo, 0x7c, v5
                                        ; implicit-def: $vgpr5
	s_and_saveexec_b32 s22, vcc_lo
	s_xor_b32 s22, exec_lo, s22
	s_cbranch_execz .LBB2_1046
; %bb.1043:                             ;   in Loop: Header=BB2_681 Depth=2
	v_bfe_u32 v5, v119, 2, 5
	s_mov_b32 s23, exec_lo
	s_delay_alu instid0(VALU_DEP_1)
	v_cmpx_eq_u32_e32 0, v5
	s_cbranch_execz .LBB2_1045
; %bb.1044:                             ;   in Loop: Header=BB2_681 Depth=2
	v_clz_i32_u32_e32 v5, v30
	s_delay_alu instid0(VALU_DEP_1) | instskip(SKIP_1) | instid1(VALU_DEP_2)
	v_min_u32_e32 v5, 32, v5
	v_mov_b32_e32 v119, v55
	v_subrev_nc_u32_e32 v30, 29, v5
	v_sub_nc_u32_e32 v5, 30, v5
	s_delay_alu instid0(VALU_DEP_2) | instskip(NEXT) | instid1(VALU_DEP_1)
	v_lshlrev_b64_e32 v[118:119], v30, v[118:119]
	v_and_b32_e32 v30, 3, v118
.LBB2_1045:                             ;   in Loop: Header=BB2_681 Depth=2
	s_or_b32 exec_lo, exec_lo, s23
	v_lshlrev_b32_e32 v118, 16, v4
	s_delay_alu instid0(VALU_DEP_1) | instskip(NEXT) | instid1(VALU_DEP_1)
	v_and_b32_e32 v118, 0x80000000, v118
	v_lshl_add_u32 v5, v5, 23, v118
	s_delay_alu instid0(VALU_DEP_1) | instskip(NEXT) | instid1(VALU_DEP_1)
	v_lshl_or_b32 v5, v30, 21, v5
                                        ; implicit-def: $vgpr30
	v_add_nc_u32_e32 v5, 0x38000000, v5
.LBB2_1046:                             ;   in Loop: Header=BB2_681 Depth=2
	s_and_not1_saveexec_b32 s22, s22
; %bb.1047:                             ;   in Loop: Header=BB2_681 Depth=2
	v_cmp_lt_i16_e32 vcc_lo, -1, v4
	v_cndmask_b32_e32 v5, 0xff800000, v21, vcc_lo
	v_cmp_eq_u32_e32 vcc_lo, 0, v30
	s_delay_alu instid0(VALU_DEP_2)
	v_cndmask_b32_e32 v5, 0x7f800001, v5, vcc_lo
; %bb.1048:                             ;   in Loop: Header=BB2_681 Depth=2
	s_or_b32 exec_lo, exec_lo, s22
.LBB2_1049:                             ;   in Loop: Header=BB2_681 Depth=2
	s_delay_alu instid0(SALU_CYCLE_1)
	s_or_b32 exec_lo, exec_lo, s21
.LBB2_1050:                             ;   in Loop: Header=BB2_681 Depth=2
	s_delay_alu instid0(SALU_CYCLE_1) | instskip(NEXT) | instid1(SALU_CYCLE_1)
	s_or_b32 exec_lo, exec_lo, s20
	s_mov_b32 s20, exec_lo
	v_cmpx_ne_u16_e32 0, v2
	s_cbranch_execz .LBB2_1060
; %bb.1051:                             ;   in Loop: Header=BB2_681 Depth=2
	v_bfrev_b32_e32 v3, 1
	s_mov_b32 s21, exec_lo
	v_cmpx_ne_u16_e32 0x80, v2
	s_cbranch_execz .LBB2_1059
; %bb.1052:                             ;   in Loop: Header=BB2_681 Depth=2
	v_and_b32_e32 v118, 0xffff, v2
	s_delay_alu instid0(VALU_DEP_1) | instskip(SKIP_1) | instid1(VALU_DEP_2)
	v_and_b32_e32 v3, 0x7c, v118
	v_and_b32_e32 v30, 3, v118
	v_cmp_ne_u32_e32 vcc_lo, 0x7c, v3
                                        ; implicit-def: $vgpr3
	s_and_saveexec_b32 s22, vcc_lo
	s_delay_alu instid0(SALU_CYCLE_1)
	s_xor_b32 s22, exec_lo, s22
	s_cbranch_execz .LBB2_1056
; %bb.1053:                             ;   in Loop: Header=BB2_681 Depth=2
	v_bfe_u32 v3, v118, 2, 5
	s_mov_b32 s23, exec_lo
	s_delay_alu instid0(VALU_DEP_1)
	v_cmpx_eq_u32_e32 0, v3
	s_cbranch_execz .LBB2_1055
; %bb.1054:                             ;   in Loop: Header=BB2_681 Depth=2
	v_clz_i32_u32_e32 v3, v30
	s_delay_alu instid0(VALU_DEP_1) | instskip(SKIP_1) | instid1(VALU_DEP_2)
	v_min_u32_e32 v30, 32, v3
	v_mov_b32_e32 v3, v55
	v_subrev_nc_u32_e32 v118, 29, v30
	s_delay_alu instid0(VALU_DEP_1) | instskip(SKIP_1) | instid1(VALU_DEP_2)
	v_lshlrev_b64_e32 v[2:3], v118, v[2:3]
	v_sub_nc_u32_e32 v3, 30, v30
	v_and_b32_e32 v30, 3, v2
.LBB2_1055:                             ;   in Loop: Header=BB2_681 Depth=2
	s_or_b32 exec_lo, exec_lo, s23
	v_lshlrev_b32_e32 v2, 16, v54
	s_delay_alu instid0(VALU_DEP_1) | instskip(NEXT) | instid1(VALU_DEP_1)
	v_and_b32_e32 v2, 0x80000000, v2
	v_lshl_add_u32 v2, v3, 23, v2
	s_delay_alu instid0(VALU_DEP_1) | instskip(NEXT) | instid1(VALU_DEP_1)
	v_lshl_or_b32 v2, v30, 21, v2
                                        ; implicit-def: $vgpr30
	v_add_nc_u32_e32 v3, 0x38000000, v2
.LBB2_1056:                             ;   in Loop: Header=BB2_681 Depth=2
	s_and_not1_saveexec_b32 s22, s22
; %bb.1057:                             ;   in Loop: Header=BB2_681 Depth=2
	v_cmp_lt_i16_e32 vcc_lo, -1, v54
	v_cndmask_b32_e32 v2, 0xff800000, v21, vcc_lo
	v_cmp_eq_u32_e32 vcc_lo, 0, v30
	s_delay_alu instid0(VALU_DEP_2)
	v_cndmask_b32_e32 v3, 0x7f800001, v2, vcc_lo
; %bb.1058:                             ;   in Loop: Header=BB2_681 Depth=2
	s_or_b32 exec_lo, exec_lo, s22
.LBB2_1059:                             ;   in Loop: Header=BB2_681 Depth=2
	s_delay_alu instid0(SALU_CYCLE_1)
	s_or_b32 exec_lo, exec_lo, s21
.LBB2_1060:                             ;   in Loop: Header=BB2_681 Depth=2
	s_delay_alu instid0(SALU_CYCLE_1) | instskip(NEXT) | instid1(VALU_DEP_1)
	s_or_b32 exec_lo, exec_lo, s20
	v_dual_max_num_f32 v2, v3, v3 :: v_dual_max_num_f32 v3, v5, v5
	s_delay_alu instid0(VALU_DEP_1)
	v_min_num_f32_e32 v30, v3, v2
.LBB2_1061:                             ;   in Loop: Header=BB2_681 Depth=2
	s_or_b32 exec_lo, exec_lo, s8
	s_delay_alu instid0(VALU_DEP_1) | instskip(SKIP_4) | instid1(VALU_DEP_3)
	v_and_b32_e32 v118, 0x7f800000, v30
	v_dual_mov_b32 v119, v55 :: v_dual_mov_b32 v3, v55
	v_and_b32_e32 v2, 0x7fffff, v30
	v_lshrrev_b32_e32 v5, 24, v30
                                        ; implicit-def: $vgpr46
	s_mov_b32 s8, exec_lo
	v_cmpx_ne_u64_e32 0x7f800000, v[118:119]
	s_xor_b32 s20, exec_lo, s8
	s_cbranch_execz .LBB2_1075
; %bb.1062:                             ;   in Loop: Header=BB2_681 Depth=2
	v_and_b32_e32 v118, 0x7fffffff, v30
	v_mov_b32_e32 v119, v55
	v_and_b32_e32 v5, 0x80, v5
                                        ; implicit-def: $vgpr46
	s_mov_b32 s8, exec_lo
	s_delay_alu instid0(VALU_DEP_2)
	v_cmpx_gt_u64_e32 0x47600001, v[118:119]
	s_xor_b32 s21, exec_lo, s8
	s_cbranch_execz .LBB2_1072
; %bb.1063:                             ;   in Loop: Header=BB2_681 Depth=2
	v_mov_b32_e32 v46, 0
	s_mov_b32 s22, exec_lo
	v_cmpx_ne_u32_e32 0, v30
	s_cbranch_execz .LBB2_1071
; %bb.1064:                             ;   in Loop: Header=BB2_681 Depth=2
	v_bfe_u32 v30, v30, 23, 8
	v_or_b32_e32 v41, 0x800000, v2
	s_delay_alu instid0(VALU_DEP_2) | instskip(SKIP_1) | instid1(VALU_DEP_2)
	v_sub_nc_u32_e32 v118, 0x71, v30
	v_cmp_gt_u32_e32 vcc_lo, 0x72, v30
	v_cndmask_b32_e32 v118, 0, v118, vcc_lo
	v_cmp_eq_u32_e32 vcc_lo, 0, v30
	s_delay_alu instid0(VALU_DEP_2) | instskip(NEXT) | instid1(VALU_DEP_1)
	v_cndmask_b32_e64 v40, v118, 0x70, vcc_lo
	v_dual_cndmask_b32 v2, v41, v2, vcc_lo :: v_dual_add_nc_u32 v118, 21, v40
	v_add_nc_u32_e32 v46, 20, v40
	s_delay_alu instid0(VALU_DEP_2) | instskip(NEXT) | instid1(VALU_DEP_2)
	v_lshlrev_b64_e64 v[118:119], v118, -1
	v_lshlrev_b64_e64 v[62:63], v46, 1
	s_delay_alu instid0(VALU_DEP_2) | instskip(SKIP_1) | instid1(VALU_DEP_4)
	v_bfi_b32 v118, v118, 0, v2
	v_lshrrev_b64 v[2:3], v40, v[2:3]
	v_bfi_b32 v119, v119, 0, 0
	s_delay_alu instid0(VALU_DEP_1) | instskip(NEXT) | instid1(VALU_DEP_3)
	v_cmp_eq_u64_e64 s8, v[118:119], v[62:63]
	v_mov_b64_e32 v[118:119], v[2:3]
	s_and_saveexec_b32 s23, s8
; %bb.1065:                             ;   in Loop: Header=BB2_681 Depth=2
	v_bfe_u32 v118, v2, 21, 1
	v_mov_b32_e32 v119, v55
	s_delay_alu instid0(VALU_DEP_1) | instskip(NEXT) | instid1(VALU_DEP_1)
	v_add_nc_u64_e32 v[118:119], v[2:3], v[118:119]
	v_add_nc_u64_e32 v[118:119], -1, v[118:119]
; %bb.1066:                             ;   in Loop: Header=BB2_681 Depth=2
	s_or_b32 exec_lo, exec_lo, s23
	v_add_nc_u32_e32 v3, 0xffffff81, v30
	v_lshrrev_b32_e32 v30, 23, v2
	s_mov_b32 s8, exec_lo
	s_delay_alu instid0(VALU_DEP_2) | instskip(NEXT) | instid1(VALU_DEP_1)
	v_cndmask_b32_e64 v3, v3, 0xffffff82, vcc_lo
	v_add3_u32 v119, v40, v3, v30
	v_and_b32_e32 v3, 0x1fffff, v118
                                        ; implicit-def: $vgpr30
	s_delay_alu instid0(VALU_DEP_1) | instskip(SKIP_1) | instid1(VALU_DEP_2)
	v_dual_add_nc_u32 v118, 14, v119 :: v_dual_add_nc_u32 v2, v3, v2
	v_mov_b32_e32 v3, v55
	v_cmpx_ne_u32_e32 0, v118
	s_xor_b32 s8, exec_lo, s8
; %bb.1067:                             ;   in Loop: Header=BB2_681 Depth=2
	s_delay_alu instid0(VALU_DEP_2) | instskip(SKIP_1) | instid1(VALU_DEP_1)
	v_cmp_lt_u64_e32 vcc_lo, 0xffffff, v[2:3]
	v_add_nc_u32_e32 v30, 15, v119
	v_cndmask_b32_e32 v30, v118, v30, vcc_lo
	v_cndmask_b32_e64 v118, 0, 1, vcc_lo
	s_delay_alu instid0(VALU_DEP_1)
	v_lshrrev_b64 v[2:3], v118, v[2:3]
; %bb.1068:                             ;   in Loop: Header=BB2_681 Depth=2
	s_and_not1_saveexec_b32 s8, s8
; %bb.1069:                             ;   in Loop: Header=BB2_681 Depth=2
	s_delay_alu instid0(VALU_DEP_1)
	v_bfe_u32 v30, v2, 23, 1
; %bb.1070:                             ;   in Loop: Header=BB2_681 Depth=2
	s_or_b32 exec_lo, exec_lo, s8
	s_delay_alu instid0(VALU_DEP_2) | instskip(NEXT) | instid1(VALU_DEP_2)
	v_lshrrev_b64 v[2:3], 21, v[2:3]
	v_cmp_gt_i32_e32 vcc_lo, 32, v30
	v_min_i32_e32 v118, 31, v30
	v_cmp_eq_u32_e64 s8, 0, v30
	s_delay_alu instid0(VALU_DEP_2) | instskip(SKIP_1) | instid1(VALU_DEP_2)
	v_dual_cndmask_b32 v3, 0, v3 :: v_dual_lshlrev_b32 v118, 2, v118
	v_cndmask_b32_e32 v2, 3, v2, vcc_lo
	v_and_b32_e32 v118, 0xfc, v118
	s_delay_alu instid0(VALU_DEP_2) | instskip(NEXT) | instid1(VALU_DEP_2)
	v_cmp_eq_u64_e32 vcc_lo, 0, v[2:3]
	v_and_or_b32 v2, v2, 3, v118
	s_and_b32 s8, s8, vcc_lo
	s_delay_alu instid0(VALU_DEP_1) | instid1(SALU_CYCLE_1)
	v_cndmask_b32_e64 v2, v2, 0, s8
	s_delay_alu instid0(VALU_DEP_1)
	v_or_b32_e32 v46, v2, v5
.LBB2_1071:                             ;   in Loop: Header=BB2_681 Depth=2
	s_or_b32 exec_lo, exec_lo, s22
                                        ; implicit-def: $vgpr5
.LBB2_1072:                             ;   in Loop: Header=BB2_681 Depth=2
	s_and_not1_saveexec_b32 s8, s21
; %bb.1073:                             ;   in Loop: Header=BB2_681 Depth=2
	v_or_b32_e32 v46, 0x7b, v5
; %bb.1074:                             ;   in Loop: Header=BB2_681 Depth=2
	s_or_b32 exec_lo, exec_lo, s8
                                        ; implicit-def: $vgpr30
                                        ; implicit-def: $vgpr2_vgpr3
                                        ; implicit-def: $vgpr5
.LBB2_1075:                             ;   in Loop: Header=BB2_681 Depth=2
	s_and_not1_saveexec_b32 s8, s20
	s_cbranch_execz .LBB2_1081
; %bb.1076:                             ;   in Loop: Header=BB2_681 Depth=2
	s_mov_b32 s20, exec_lo
                                        ; implicit-def: $vgpr46
	v_cmpx_ne_u64_e32 0, v[2:3]
	s_xor_b32 s20, exec_lo, s20
; %bb.1077:                             ;   in Loop: Header=BB2_681 Depth=2
	v_or_b32_e32 v46, 0x7f, v5
                                        ; implicit-def: $vgpr30
; %bb.1078:                             ;   in Loop: Header=BB2_681 Depth=2
	s_and_not1_saveexec_b32 s20, s20
; %bb.1079:                             ;   in Loop: Header=BB2_681 Depth=2
	v_cmp_lt_i32_e32 vcc_lo, -1, v30
	v_cndmask_b32_e32 v46, 0xfc, v58, vcc_lo
; %bb.1080:                             ;   in Loop: Header=BB2_681 Depth=2
	s_or_b32 exec_lo, exec_lo, s20
.LBB2_1081:                             ;   in Loop: Header=BB2_681 Depth=2
	s_delay_alu instid0(SALU_CYCLE_1) | instskip(SKIP_1) | instid1(VALU_DEP_1)
	s_or_b32 exec_lo, exec_lo, s8
	v_dual_lshrrev_b32 v30, 16, v4 :: v_dual_lshrrev_b32 v2, 16, v54
                                        ; implicit-def: $vgpr118
	v_and_b32_e32 v119, 0xff, v30
	s_delay_alu instid0(VALU_DEP_1) | instskip(SKIP_1) | instid1(SALU_CYCLE_1)
	v_cmp_ne_u16_e32 vcc_lo, 0, v119
	s_and_saveexec_b32 s8, s6
	s_xor_b32 s20, exec_lo, s8
	s_cbranch_execz .LBB2_1103
; %bb.1082:                             ;   in Loop: Header=BB2_681 Depth=2
	v_dual_mov_b32 v5, 0 :: v_dual_mov_b32 v3, 0
	s_and_saveexec_b32 s21, vcc_lo
	s_cbranch_execz .LBB2_1092
; %bb.1083:                             ;   in Loop: Header=BB2_681 Depth=2
	v_bfrev_b32_e32 v3, 1
	s_mov_b32 s22, exec_lo
	v_cmpx_ne_u16_e32 0x80, v119
	s_cbranch_execz .LBB2_1091
; %bb.1084:                             ;   in Loop: Header=BB2_681 Depth=2
	v_and_b32_e32 v3, 0x7c0000, v4
	v_bfe_u32 v118, v4, 16, 2
	s_delay_alu instid0(VALU_DEP_2) | instskip(SKIP_1) | instid1(SALU_CYCLE_1)
	v_cmp_ne_u32_e64 s8, 0x7c0000, v3
                                        ; implicit-def: $vgpr3
	s_and_saveexec_b32 s23, s8
	s_xor_b32 s23, exec_lo, s23
	s_cbranch_execz .LBB2_1088
; %bb.1085:                             ;   in Loop: Header=BB2_681 Depth=2
	v_bfe_u32 v3, v4, 18, 5
	s_mov_b32 s24, exec_lo
	s_delay_alu instid0(VALU_DEP_1)
	v_cmpx_eq_u32_e32 0, v3
; %bb.1086:                             ;   in Loop: Header=BB2_681 Depth=2
	v_clz_i32_u32_e32 v3, v118
	s_delay_alu instid0(VALU_DEP_1) | instskip(NEXT) | instid1(VALU_DEP_1)
	v_min_u32_e32 v3, 32, v3
	v_subrev_nc_u32_e32 v118, 29, v3
	s_delay_alu instid0(VALU_DEP_1) | instskip(NEXT) | instid1(VALU_DEP_1)
	v_lshlrev_b64_e32 v[118:119], v118, v[30:31]
	v_dual_sub_nc_u32 v3, 30, v3 :: v_dual_bitop2_b32 v118, 3, v118 bitop3:0x40
; %bb.1087:                             ;   in Loop: Header=BB2_681 Depth=2
	s_or_b32 exec_lo, exec_lo, s24
	v_lshlrev_b32_e32 v30, 24, v30
	s_delay_alu instid0(VALU_DEP_1) | instskip(NEXT) | instid1(VALU_DEP_1)
	v_and_b32_e32 v30, 0x80000000, v30
	v_lshl_add_u32 v3, v3, 23, v30
                                        ; implicit-def: $vgpr30
	s_delay_alu instid0(VALU_DEP_1) | instskip(NEXT) | instid1(VALU_DEP_1)
	v_lshl_or_b32 v3, v118, 21, v3
                                        ; implicit-def: $vgpr118
	v_add_nc_u32_e32 v3, 0x38000000, v3
.LBB2_1088:                             ;   in Loop: Header=BB2_681 Depth=2
	s_and_not1_saveexec_b32 s23, s23
; %bb.1089:                             ;   in Loop: Header=BB2_681 Depth=2
	v_bfe_i32 v3, v30, 0, 8
	s_delay_alu instid0(VALU_DEP_1) | instskip(NEXT) | instid1(VALU_DEP_1)
	v_cmp_lt_i16_e64 s8, -1, v3
	v_cndmask_b32_e64 v3, 0xff800000, v21, s8
	v_cmp_eq_u32_e64 s8, 0, v118
	s_delay_alu instid0(VALU_DEP_1)
	v_cndmask_b32_e64 v3, 0x7f800001, v3, s8
; %bb.1090:                             ;   in Loop: Header=BB2_681 Depth=2
	s_or_b32 exec_lo, exec_lo, s23
.LBB2_1091:                             ;   in Loop: Header=BB2_681 Depth=2
	s_delay_alu instid0(SALU_CYCLE_1)
	s_or_b32 exec_lo, exec_lo, s22
.LBB2_1092:                             ;   in Loop: Header=BB2_681 Depth=2
	s_delay_alu instid0(SALU_CYCLE_1) | instskip(SKIP_2) | instid1(VALU_DEP_1)
	s_or_b32 exec_lo, exec_lo, s21
	v_and_b32_e32 v30, 0xff, v2
	s_mov_b32 s21, exec_lo
	v_cmpx_ne_u16_e32 0, v30
	s_cbranch_execz .LBB2_1102
; %bb.1093:                             ;   in Loop: Header=BB2_681 Depth=2
	v_bfrev_b32_e32 v5, 1
	s_mov_b32 s22, exec_lo
	v_cmpx_ne_u16_e32 0x80, v30
	s_cbranch_execz .LBB2_1101
; %bb.1094:                             ;   in Loop: Header=BB2_681 Depth=2
	v_and_b32_e32 v5, 0x7c0000, v54
	v_bfe_u32 v30, v54, 16, 2
	s_delay_alu instid0(VALU_DEP_2) | instskip(SKIP_1) | instid1(SALU_CYCLE_1)
	v_cmp_ne_u32_e64 s8, 0x7c0000, v5
                                        ; implicit-def: $vgpr5
	s_and_saveexec_b32 s23, s8
	s_xor_b32 s23, exec_lo, s23
	s_cbranch_execz .LBB2_1098
; %bb.1095:                             ;   in Loop: Header=BB2_681 Depth=2
	v_bfe_u32 v5, v54, 18, 5
	s_mov_b32 s24, exec_lo
	s_delay_alu instid0(VALU_DEP_1)
	v_cmpx_eq_u32_e32 0, v5
; %bb.1096:                             ;   in Loop: Header=BB2_681 Depth=2
	v_clz_i32_u32_e32 v5, v30
	s_delay_alu instid0(VALU_DEP_1) | instskip(NEXT) | instid1(VALU_DEP_1)
	v_min_u32_e32 v5, 32, v5
	v_subrev_nc_u32_e32 v30, 29, v5
	s_delay_alu instid0(VALU_DEP_1) | instskip(NEXT) | instid1(VALU_DEP_1)
	v_lshlrev_b64_e32 v[118:119], v30, v[2:3]
	v_dual_sub_nc_u32 v5, 30, v5 :: v_dual_bitop2_b32 v30, 3, v118 bitop3:0x40
; %bb.1097:                             ;   in Loop: Header=BB2_681 Depth=2
	s_or_b32 exec_lo, exec_lo, s24
	v_lshlrev_b32_e32 v2, 24, v2
	s_delay_alu instid0(VALU_DEP_1) | instskip(NEXT) | instid1(VALU_DEP_1)
	v_and_b32_e32 v2, 0x80000000, v2
	v_lshl_add_u32 v2, v5, 23, v2
	s_delay_alu instid0(VALU_DEP_1) | instskip(NEXT) | instid1(VALU_DEP_1)
	v_lshl_or_b32 v2, v30, 21, v2
                                        ; implicit-def: $vgpr30
	v_add_nc_u32_e32 v5, 0x38000000, v2
                                        ; implicit-def: $vgpr2
.LBB2_1098:                             ;   in Loop: Header=BB2_681 Depth=2
	s_and_not1_saveexec_b32 s23, s23
; %bb.1099:                             ;   in Loop: Header=BB2_681 Depth=2
	v_bfe_i32 v2, v2, 0, 8
	s_delay_alu instid0(VALU_DEP_1) | instskip(NEXT) | instid1(VALU_DEP_1)
	v_cmp_lt_i16_e64 s8, -1, v2
	v_cndmask_b32_e64 v2, 0xff800000, v21, s8
	v_cmp_eq_u32_e64 s8, 0, v30
	s_delay_alu instid0(VALU_DEP_1)
	v_cndmask_b32_e64 v5, 0x7f800001, v2, s8
; %bb.1100:                             ;   in Loop: Header=BB2_681 Depth=2
	s_or_b32 exec_lo, exec_lo, s23
.LBB2_1101:                             ;   in Loop: Header=BB2_681 Depth=2
	s_delay_alu instid0(SALU_CYCLE_1)
	s_or_b32 exec_lo, exec_lo, s22
.LBB2_1102:                             ;   in Loop: Header=BB2_681 Depth=2
	s_delay_alu instid0(SALU_CYCLE_1) | instskip(NEXT) | instid1(VALU_DEP_1)
	s_or_b32 exec_lo, exec_lo, s21
	v_dual_max_num_f32 v2, v5, v5 :: v_dual_max_num_f32 v3, v3, v3
                                        ; implicit-def: $vgpr119
                                        ; implicit-def: $vgpr30
	s_delay_alu instid0(VALU_DEP_1)
	v_max_num_f32_e32 v118, v3, v2
                                        ; implicit-def: $vgpr2
.LBB2_1103:                             ;   in Loop: Header=BB2_681 Depth=2
	s_and_not1_saveexec_b32 s8, s20
	s_cbranch_execz .LBB2_1125
; %bb.1104:                             ;   in Loop: Header=BB2_681 Depth=2
	v_dual_mov_b32 v5, 0 :: v_dual_mov_b32 v3, 0
	s_and_saveexec_b32 s20, vcc_lo
	s_cbranch_execz .LBB2_1114
; %bb.1105:                             ;   in Loop: Header=BB2_681 Depth=2
	v_bfrev_b32_e32 v3, 1
	s_mov_b32 s21, exec_lo
	v_cmpx_ne_u16_e32 0x80, v119
	s_cbranch_execz .LBB2_1113
; %bb.1106:                             ;   in Loop: Header=BB2_681 Depth=2
	v_and_b32_e32 v3, 0x7c0000, v4
	v_bfe_u32 v118, v4, 16, 2
	s_delay_alu instid0(VALU_DEP_2) | instskip(SKIP_1) | instid1(SALU_CYCLE_1)
	v_cmp_ne_u32_e32 vcc_lo, 0x7c0000, v3
                                        ; implicit-def: $vgpr3
	s_and_saveexec_b32 s22, vcc_lo
	s_xor_b32 s22, exec_lo, s22
	s_cbranch_execz .LBB2_1110
; %bb.1107:                             ;   in Loop: Header=BB2_681 Depth=2
	v_bfe_u32 v3, v4, 18, 5
	s_mov_b32 s23, exec_lo
	s_delay_alu instid0(VALU_DEP_1)
	v_cmpx_eq_u32_e32 0, v3
; %bb.1108:                             ;   in Loop: Header=BB2_681 Depth=2
	v_clz_i32_u32_e32 v3, v118
	s_delay_alu instid0(VALU_DEP_1) | instskip(NEXT) | instid1(VALU_DEP_1)
	v_min_u32_e32 v3, 32, v3
	v_subrev_nc_u32_e32 v118, 29, v3
	s_delay_alu instid0(VALU_DEP_1) | instskip(NEXT) | instid1(VALU_DEP_1)
	v_lshlrev_b64_e32 v[118:119], v118, v[30:31]
	v_dual_sub_nc_u32 v3, 30, v3 :: v_dual_bitop2_b32 v118, 3, v118 bitop3:0x40
; %bb.1109:                             ;   in Loop: Header=BB2_681 Depth=2
	s_or_b32 exec_lo, exec_lo, s23
	v_lshlrev_b32_e32 v30, 24, v30
	s_delay_alu instid0(VALU_DEP_1) | instskip(NEXT) | instid1(VALU_DEP_1)
	v_and_b32_e32 v30, 0x80000000, v30
	v_lshl_add_u32 v3, v3, 23, v30
                                        ; implicit-def: $vgpr30
	s_delay_alu instid0(VALU_DEP_1) | instskip(NEXT) | instid1(VALU_DEP_1)
	v_lshl_or_b32 v3, v118, 21, v3
                                        ; implicit-def: $vgpr118
	v_add_nc_u32_e32 v3, 0x38000000, v3
.LBB2_1110:                             ;   in Loop: Header=BB2_681 Depth=2
	s_and_not1_saveexec_b32 s22, s22
; %bb.1111:                             ;   in Loop: Header=BB2_681 Depth=2
	v_bfe_i32 v3, v30, 0, 8
	s_delay_alu instid0(VALU_DEP_1) | instskip(SKIP_2) | instid1(VALU_DEP_2)
	v_cmp_lt_i16_e32 vcc_lo, -1, v3
	v_cndmask_b32_e32 v3, 0xff800000, v21, vcc_lo
	v_cmp_eq_u32_e32 vcc_lo, 0, v118
	v_cndmask_b32_e32 v3, 0x7f800001, v3, vcc_lo
; %bb.1112:                             ;   in Loop: Header=BB2_681 Depth=2
	s_or_b32 exec_lo, exec_lo, s22
.LBB2_1113:                             ;   in Loop: Header=BB2_681 Depth=2
	s_delay_alu instid0(SALU_CYCLE_1)
	s_or_b32 exec_lo, exec_lo, s21
.LBB2_1114:                             ;   in Loop: Header=BB2_681 Depth=2
	s_delay_alu instid0(SALU_CYCLE_1) | instskip(SKIP_2) | instid1(VALU_DEP_1)
	s_or_b32 exec_lo, exec_lo, s20
	v_and_b32_e32 v30, 0xff, v2
	s_mov_b32 s20, exec_lo
	v_cmpx_ne_u16_e32 0, v30
	s_cbranch_execz .LBB2_1124
; %bb.1115:                             ;   in Loop: Header=BB2_681 Depth=2
	v_bfrev_b32_e32 v5, 1
	s_mov_b32 s21, exec_lo
	v_cmpx_ne_u16_e32 0x80, v30
	s_cbranch_execz .LBB2_1123
; %bb.1116:                             ;   in Loop: Header=BB2_681 Depth=2
	v_and_b32_e32 v5, 0x7c0000, v54
	v_bfe_u32 v30, v54, 16, 2
	s_delay_alu instid0(VALU_DEP_2) | instskip(SKIP_1) | instid1(SALU_CYCLE_1)
	v_cmp_ne_u32_e32 vcc_lo, 0x7c0000, v5
                                        ; implicit-def: $vgpr5
	s_and_saveexec_b32 s22, vcc_lo
	s_xor_b32 s22, exec_lo, s22
	s_cbranch_execz .LBB2_1120
; %bb.1117:                             ;   in Loop: Header=BB2_681 Depth=2
	v_bfe_u32 v5, v54, 18, 5
	s_mov_b32 s23, exec_lo
	s_delay_alu instid0(VALU_DEP_1)
	v_cmpx_eq_u32_e32 0, v5
; %bb.1118:                             ;   in Loop: Header=BB2_681 Depth=2
	v_clz_i32_u32_e32 v5, v30
	s_delay_alu instid0(VALU_DEP_1) | instskip(NEXT) | instid1(VALU_DEP_1)
	v_min_u32_e32 v5, 32, v5
	v_subrev_nc_u32_e32 v30, 29, v5
	s_delay_alu instid0(VALU_DEP_1) | instskip(NEXT) | instid1(VALU_DEP_1)
	v_lshlrev_b64_e32 v[118:119], v30, v[2:3]
	v_dual_sub_nc_u32 v5, 30, v5 :: v_dual_bitop2_b32 v30, 3, v118 bitop3:0x40
; %bb.1119:                             ;   in Loop: Header=BB2_681 Depth=2
	s_or_b32 exec_lo, exec_lo, s23
	v_lshlrev_b32_e32 v2, 24, v2
	s_delay_alu instid0(VALU_DEP_1) | instskip(NEXT) | instid1(VALU_DEP_1)
	v_and_b32_e32 v2, 0x80000000, v2
	v_lshl_add_u32 v2, v5, 23, v2
	s_delay_alu instid0(VALU_DEP_1) | instskip(NEXT) | instid1(VALU_DEP_1)
	v_lshl_or_b32 v2, v30, 21, v2
                                        ; implicit-def: $vgpr30
	v_add_nc_u32_e32 v5, 0x38000000, v2
                                        ; implicit-def: $vgpr2
.LBB2_1120:                             ;   in Loop: Header=BB2_681 Depth=2
	s_and_not1_saveexec_b32 s22, s22
; %bb.1121:                             ;   in Loop: Header=BB2_681 Depth=2
	v_bfe_i32 v2, v2, 0, 8
	s_delay_alu instid0(VALU_DEP_1) | instskip(SKIP_2) | instid1(VALU_DEP_2)
	v_cmp_lt_i16_e32 vcc_lo, -1, v2
	v_cndmask_b32_e32 v2, 0xff800000, v21, vcc_lo
	v_cmp_eq_u32_e32 vcc_lo, 0, v30
	v_cndmask_b32_e32 v5, 0x7f800001, v2, vcc_lo
; %bb.1122:                             ;   in Loop: Header=BB2_681 Depth=2
	s_or_b32 exec_lo, exec_lo, s22
.LBB2_1123:                             ;   in Loop: Header=BB2_681 Depth=2
	s_delay_alu instid0(SALU_CYCLE_1)
	s_or_b32 exec_lo, exec_lo, s21
.LBB2_1124:                             ;   in Loop: Header=BB2_681 Depth=2
	s_delay_alu instid0(SALU_CYCLE_1) | instskip(NEXT) | instid1(VALU_DEP_1)
	s_or_b32 exec_lo, exec_lo, s20
	v_dual_max_num_f32 v2, v5, v5 :: v_dual_max_num_f32 v3, v3, v3
	s_delay_alu instid0(VALU_DEP_1)
	v_min_num_f32_e32 v118, v3, v2
.LBB2_1125:                             ;   in Loop: Header=BB2_681 Depth=2
	s_or_b32 exec_lo, exec_lo, s8
	s_delay_alu instid0(VALU_DEP_1) | instskip(SKIP_4) | instid1(VALU_DEP_3)
	v_and_b32_e32 v40, 0x7f800000, v118
	v_dual_mov_b32 v41, v55 :: v_dual_mov_b32 v3, v55
	v_and_b32_e32 v2, 0x7fffff, v118
	v_lshrrev_b32_e32 v5, 24, v118
                                        ; implicit-def: $vgpr61
	s_mov_b32 s8, exec_lo
	v_cmpx_ne_u64_e32 0x7f800000, v[40:41]
	s_xor_b32 s20, exec_lo, s8
	s_cbranch_execz .LBB2_1139
; %bb.1126:                             ;   in Loop: Header=BB2_681 Depth=2
	v_and_b32_e32 v40, 0x7fffffff, v118
	v_mov_b32_e32 v41, v55
	v_and_b32_e32 v5, 0x80, v5
                                        ; implicit-def: $vgpr61
	s_mov_b32 s8, exec_lo
	s_delay_alu instid0(VALU_DEP_2)
	v_cmpx_gt_u64_e32 0x47600001, v[40:41]
	s_xor_b32 s21, exec_lo, s8
	s_cbranch_execz .LBB2_1136
; %bb.1127:                             ;   in Loop: Header=BB2_681 Depth=2
	v_mov_b32_e32 v61, 0
	s_mov_b32 s22, exec_lo
	v_cmpx_ne_u32_e32 0, v118
	s_cbranch_execz .LBB2_1135
; %bb.1128:                             ;   in Loop: Header=BB2_681 Depth=2
	v_bfe_u32 v30, v118, 23, 8
	v_or_b32_e32 v41, 0x800000, v2
	s_delay_alu instid0(VALU_DEP_2) | instskip(SKIP_1) | instid1(VALU_DEP_2)
	v_sub_nc_u32_e32 v118, 0x71, v30
	v_cmp_gt_u32_e32 vcc_lo, 0x72, v30
	v_cndmask_b32_e32 v118, 0, v118, vcc_lo
	v_cmp_eq_u32_e32 vcc_lo, 0, v30
	s_delay_alu instid0(VALU_DEP_2) | instskip(NEXT) | instid1(VALU_DEP_1)
	v_cndmask_b32_e64 v40, v118, 0x70, vcc_lo
	v_dual_cndmask_b32 v2, v41, v2, vcc_lo :: v_dual_add_nc_u32 v118, 21, v40
	v_add_nc_u32_e32 v61, 20, v40
	s_delay_alu instid0(VALU_DEP_2) | instskip(NEXT) | instid1(VALU_DEP_2)
	v_lshlrev_b64_e64 v[118:119], v118, -1
	v_lshlrev_b64_e64 v[62:63], v61, 1
	s_delay_alu instid0(VALU_DEP_2) | instskip(SKIP_1) | instid1(VALU_DEP_4)
	v_bfi_b32 v118, v118, 0, v2
	v_lshrrev_b64 v[2:3], v40, v[2:3]
	v_bfi_b32 v119, v119, 0, 0
	s_delay_alu instid0(VALU_DEP_1) | instskip(NEXT) | instid1(VALU_DEP_3)
	v_cmp_eq_u64_e64 s8, v[118:119], v[62:63]
	v_mov_b64_e32 v[118:119], v[2:3]
	s_and_saveexec_b32 s23, s8
; %bb.1129:                             ;   in Loop: Header=BB2_681 Depth=2
	v_bfe_u32 v118, v2, 21, 1
	v_mov_b32_e32 v119, v55
	s_delay_alu instid0(VALU_DEP_1) | instskip(NEXT) | instid1(VALU_DEP_1)
	v_add_nc_u64_e32 v[118:119], v[2:3], v[118:119]
	v_add_nc_u64_e32 v[118:119], -1, v[118:119]
; %bb.1130:                             ;   in Loop: Header=BB2_681 Depth=2
	s_or_b32 exec_lo, exec_lo, s23
	v_add_nc_u32_e32 v3, 0xffffff81, v30
	v_lshrrev_b32_e32 v30, 23, v2
	s_mov_b32 s8, exec_lo
	s_delay_alu instid0(VALU_DEP_2) | instskip(NEXT) | instid1(VALU_DEP_1)
	v_cndmask_b32_e64 v3, v3, 0xffffff82, vcc_lo
	v_add3_u32 v119, v40, v3, v30
	v_and_b32_e32 v3, 0x1fffff, v118
                                        ; implicit-def: $vgpr30
	s_delay_alu instid0(VALU_DEP_1) | instskip(SKIP_1) | instid1(VALU_DEP_2)
	v_dual_add_nc_u32 v118, 14, v119 :: v_dual_add_nc_u32 v2, v3, v2
	v_mov_b32_e32 v3, v55
	v_cmpx_ne_u32_e32 0, v118
	s_xor_b32 s8, exec_lo, s8
; %bb.1131:                             ;   in Loop: Header=BB2_681 Depth=2
	s_delay_alu instid0(VALU_DEP_2) | instskip(SKIP_1) | instid1(VALU_DEP_1)
	v_cmp_lt_u64_e32 vcc_lo, 0xffffff, v[2:3]
	v_add_nc_u32_e32 v30, 15, v119
	v_cndmask_b32_e32 v30, v118, v30, vcc_lo
	v_cndmask_b32_e64 v118, 0, 1, vcc_lo
	s_delay_alu instid0(VALU_DEP_1)
	v_lshrrev_b64 v[2:3], v118, v[2:3]
; %bb.1132:                             ;   in Loop: Header=BB2_681 Depth=2
	s_and_not1_saveexec_b32 s8, s8
; %bb.1133:                             ;   in Loop: Header=BB2_681 Depth=2
	s_delay_alu instid0(VALU_DEP_1)
	v_bfe_u32 v30, v2, 23, 1
; %bb.1134:                             ;   in Loop: Header=BB2_681 Depth=2
	s_or_b32 exec_lo, exec_lo, s8
	s_delay_alu instid0(VALU_DEP_2) | instskip(NEXT) | instid1(VALU_DEP_2)
	v_lshrrev_b64 v[2:3], 21, v[2:3]
	v_cmp_gt_i32_e32 vcc_lo, 32, v30
	v_min_i32_e32 v118, 31, v30
	v_cmp_eq_u32_e64 s8, 0, v30
	s_delay_alu instid0(VALU_DEP_2) | instskip(SKIP_1) | instid1(VALU_DEP_2)
	v_dual_cndmask_b32 v3, 0, v3 :: v_dual_lshlrev_b32 v118, 2, v118
	v_cndmask_b32_e32 v2, 3, v2, vcc_lo
	v_and_b32_e32 v118, 0xfc, v118
	s_delay_alu instid0(VALU_DEP_2) | instskip(NEXT) | instid1(VALU_DEP_2)
	v_cmp_eq_u64_e32 vcc_lo, 0, v[2:3]
	v_and_or_b32 v2, v2, 3, v118
	s_and_b32 s8, s8, vcc_lo
	s_delay_alu instid0(VALU_DEP_1) | instid1(SALU_CYCLE_1)
	v_cndmask_b32_e64 v2, v2, 0, s8
	s_delay_alu instid0(VALU_DEP_1)
	v_or_b32_e32 v61, v2, v5
.LBB2_1135:                             ;   in Loop: Header=BB2_681 Depth=2
	s_or_b32 exec_lo, exec_lo, s22
                                        ; implicit-def: $vgpr5
.LBB2_1136:                             ;   in Loop: Header=BB2_681 Depth=2
	s_and_not1_saveexec_b32 s8, s21
; %bb.1137:                             ;   in Loop: Header=BB2_681 Depth=2
	v_or_b32_e32 v61, 0x7b, v5
; %bb.1138:                             ;   in Loop: Header=BB2_681 Depth=2
	s_or_b32 exec_lo, exec_lo, s8
                                        ; implicit-def: $vgpr118
                                        ; implicit-def: $vgpr2_vgpr3
                                        ; implicit-def: $vgpr5
.LBB2_1139:                             ;   in Loop: Header=BB2_681 Depth=2
	s_and_not1_saveexec_b32 s8, s20
	s_cbranch_execz .LBB2_1145
; %bb.1140:                             ;   in Loop: Header=BB2_681 Depth=2
	s_mov_b32 s20, exec_lo
                                        ; implicit-def: $vgpr61
	v_cmpx_ne_u64_e32 0, v[2:3]
	s_xor_b32 s20, exec_lo, s20
; %bb.1141:                             ;   in Loop: Header=BB2_681 Depth=2
	v_or_b32_e32 v61, 0x7f, v5
                                        ; implicit-def: $vgpr118
; %bb.1142:                             ;   in Loop: Header=BB2_681 Depth=2
	s_and_not1_saveexec_b32 s20, s20
; %bb.1143:                             ;   in Loop: Header=BB2_681 Depth=2
	v_cmp_lt_i32_e32 vcc_lo, -1, v118
	v_cndmask_b32_e32 v61, 0xfc, v58, vcc_lo
; %bb.1144:                             ;   in Loop: Header=BB2_681 Depth=2
	s_or_b32 exec_lo, exec_lo, s20
.LBB2_1145:                             ;   in Loop: Header=BB2_681 Depth=2
	s_delay_alu instid0(SALU_CYCLE_1) | instskip(SKIP_3) | instid1(VALU_DEP_3)
	s_or_b32 exec_lo, exec_lo, s8
	v_dual_mov_b32 v40, v55 :: v_dual_mov_b32 v41, v4
	v_dual_lshrrev_b32 v30, 24, v4 :: v_dual_lshrrev_b32 v2, 24, v54
	v_dual_mov_b32 v118, v55 :: v_dual_mov_b32 v119, v54
	v_cmp_lt_u64_e32 vcc_lo, s[12:13], v[40:41]
                                        ; implicit-def: $vgpr3
	s_and_saveexec_b32 s8, s6
	s_delay_alu instid0(SALU_CYCLE_1)
	s_xor_b32 s20, exec_lo, s8
	s_cbranch_execz .LBB2_1167
; %bb.1146:                             ;   in Loop: Header=BB2_681 Depth=2
	v_dual_mov_b32 v5, 0 :: v_dual_mov_b32 v3, 0
	s_and_saveexec_b32 s21, vcc_lo
	s_cbranch_execz .LBB2_1156
; %bb.1147:                             ;   in Loop: Header=BB2_681 Depth=2
	v_bfrev_b32_e32 v3, 1
	s_mov_b32 s22, exec_lo
	v_cmpx_ne_u32_e32 0x80, v30
	s_cbranch_execz .LBB2_1155
; %bb.1148:                             ;   in Loop: Header=BB2_681 Depth=2
	v_and_b32_e32 v3, 0x7c000000, v4
	v_bfe_u32 v62, v4, 24, 2
	s_delay_alu instid0(VALU_DEP_2) | instskip(SKIP_1) | instid1(SALU_CYCLE_1)
	v_cmp_ne_u32_e64 s8, 0x7c000000, v3
                                        ; implicit-def: $vgpr3
	s_and_saveexec_b32 s23, s8
	s_xor_b32 s23, exec_lo, s23
	s_cbranch_execz .LBB2_1152
; %bb.1149:                             ;   in Loop: Header=BB2_681 Depth=2
	v_bfe_u32 v3, v4, 26, 5
	s_mov_b32 s24, exec_lo
	s_delay_alu instid0(VALU_DEP_1)
	v_cmpx_eq_u32_e32 0, v3
; %bb.1150:                             ;   in Loop: Header=BB2_681 Depth=2
	v_clz_i32_u32_e32 v3, v62
	s_delay_alu instid0(VALU_DEP_1) | instskip(NEXT) | instid1(VALU_DEP_1)
	v_min_u32_e32 v3, 32, v3
	v_subrev_nc_u32_e32 v40, 29, v3
	s_delay_alu instid0(VALU_DEP_1) | instskip(NEXT) | instid1(VALU_DEP_1)
	v_lshlrev_b64_e32 v[40:41], v40, v[30:31]
	v_dual_sub_nc_u32 v3, 30, v3 :: v_dual_bitop2_b32 v62, 3, v40 bitop3:0x40
; %bb.1151:                             ;   in Loop: Header=BB2_681 Depth=2
	s_or_b32 exec_lo, exec_lo, s24
	v_and_b32_e32 v4, 0x80000000, v4
                                        ; implicit-def: $vgpr40_vgpr41
	s_delay_alu instid0(VALU_DEP_1) | instskip(NEXT) | instid1(VALU_DEP_1)
	v_lshl_add_u32 v3, v3, 23, v4
	v_lshl_or_b32 v3, v62, 21, v3
                                        ; implicit-def: $vgpr62
	s_delay_alu instid0(VALU_DEP_1)
	v_add_nc_u32_e32 v3, 0x38000000, v3
.LBB2_1152:                             ;   in Loop: Header=BB2_681 Depth=2
	s_and_not1_saveexec_b32 s23, s23
; %bb.1153:                             ;   in Loop: Header=BB2_681 Depth=2
	v_cmp_lt_i64_e64 s8, -1, v[40:41]
	s_delay_alu instid0(VALU_DEP_1) | instskip(SKIP_1) | instid1(VALU_DEP_1)
	v_cndmask_b32_e64 v3, 0xff800000, v21, s8
	v_cmp_eq_u32_e64 s8, 0, v62
	v_cndmask_b32_e64 v3, 0x7f800001, v3, s8
; %bb.1154:                             ;   in Loop: Header=BB2_681 Depth=2
	s_or_b32 exec_lo, exec_lo, s23
.LBB2_1155:                             ;   in Loop: Header=BB2_681 Depth=2
	s_delay_alu instid0(SALU_CYCLE_1)
	s_or_b32 exec_lo, exec_lo, s22
.LBB2_1156:                             ;   in Loop: Header=BB2_681 Depth=2
	s_delay_alu instid0(SALU_CYCLE_1) | instskip(NEXT) | instid1(SALU_CYCLE_1)
	s_or_b32 exec_lo, exec_lo, s21
	s_mov_b32 s21, exec_lo
	v_cmpx_lt_u32_e32 0xffffff, v54
	s_cbranch_execz .LBB2_1166
; %bb.1157:                             ;   in Loop: Header=BB2_681 Depth=2
	v_bfrev_b32_e32 v5, 1
	s_mov_b32 s22, exec_lo
	v_cmpx_ne_u32_e32 0x80, v2
	s_cbranch_execz .LBB2_1165
; %bb.1158:                             ;   in Loop: Header=BB2_681 Depth=2
	v_and_b32_e32 v5, 0x7c000000, v54
	v_bfe_u32 v4, v54, 24, 2
	s_delay_alu instid0(VALU_DEP_2) | instskip(SKIP_1) | instid1(SALU_CYCLE_1)
	v_cmp_ne_u32_e64 s8, 0x7c000000, v5
                                        ; implicit-def: $vgpr5
	s_and_saveexec_b32 s23, s8
	s_xor_b32 s23, exec_lo, s23
	s_cbranch_execz .LBB2_1162
; %bb.1159:                             ;   in Loop: Header=BB2_681 Depth=2
	v_bfe_u32 v5, v54, 26, 5
	s_mov_b32 s24, exec_lo
	s_delay_alu instid0(VALU_DEP_1)
	v_cmpx_eq_u32_e32 0, v5
; %bb.1160:                             ;   in Loop: Header=BB2_681 Depth=2
	v_clz_i32_u32_e32 v4, v4
	s_delay_alu instid0(VALU_DEP_1) | instskip(NEXT) | instid1(VALU_DEP_1)
	v_min_u32_e32 v30, 32, v4
	v_subrev_nc_u32_e32 v4, 29, v30
	s_delay_alu instid0(VALU_DEP_1) | instskip(NEXT) | instid1(VALU_DEP_1)
	v_lshlrev_b64_e32 v[4:5], v4, v[2:3]
	v_dual_sub_nc_u32 v5, 30, v30 :: v_dual_bitop2_b32 v4, 3, v4 bitop3:0x40
; %bb.1161:                             ;   in Loop: Header=BB2_681 Depth=2
	s_or_b32 exec_lo, exec_lo, s24
	v_and_b32_e32 v2, 0x80000000, v54
                                        ; implicit-def: $vgpr118_vgpr119
	s_delay_alu instid0(VALU_DEP_1) | instskip(NEXT) | instid1(VALU_DEP_1)
	v_lshl_add_u32 v2, v5, 23, v2
	v_lshl_or_b32 v2, v4, 21, v2
                                        ; implicit-def: $vgpr4
	s_delay_alu instid0(VALU_DEP_1)
	v_add_nc_u32_e32 v5, 0x38000000, v2
.LBB2_1162:                             ;   in Loop: Header=BB2_681 Depth=2
	s_and_not1_saveexec_b32 s23, s23
; %bb.1163:                             ;   in Loop: Header=BB2_681 Depth=2
	v_cmp_lt_i64_e64 s8, -1, v[118:119]
	s_delay_alu instid0(VALU_DEP_1) | instskip(SKIP_1) | instid1(VALU_DEP_1)
	v_cndmask_b32_e64 v2, 0xff800000, v21, s8
	v_cmp_eq_u32_e64 s8, 0, v4
	v_cndmask_b32_e64 v5, 0x7f800001, v2, s8
; %bb.1164:                             ;   in Loop: Header=BB2_681 Depth=2
	s_or_b32 exec_lo, exec_lo, s23
.LBB2_1165:                             ;   in Loop: Header=BB2_681 Depth=2
	s_delay_alu instid0(SALU_CYCLE_1)
	s_or_b32 exec_lo, exec_lo, s22
.LBB2_1166:                             ;   in Loop: Header=BB2_681 Depth=2
	s_delay_alu instid0(SALU_CYCLE_1) | instskip(NEXT) | instid1(VALU_DEP_1)
	s_or_b32 exec_lo, exec_lo, s21
	v_dual_max_num_f32 v2, v5, v5 :: v_dual_max_num_f32 v3, v3, v3
                                        ; implicit-def: $vgpr30
                                        ; implicit-def: $vgpr118_vgpr119
                                        ; implicit-def: $vgpr40_vgpr41
                                        ; implicit-def: $vgpr4_vgpr5
	s_delay_alu instid0(VALU_DEP_1)
	v_max_num_f32_e32 v3, v3, v2
                                        ; implicit-def: $vgpr2
.LBB2_1167:                             ;   in Loop: Header=BB2_681 Depth=2
	s_and_not1_saveexec_b32 s8, s20
	s_cbranch_execz .LBB2_1189
; %bb.1168:                             ;   in Loop: Header=BB2_681 Depth=2
	v_dual_mov_b32 v5, 0 :: v_dual_mov_b32 v3, 0
	s_and_saveexec_b32 s20, vcc_lo
	s_cbranch_execz .LBB2_1178
; %bb.1169:                             ;   in Loop: Header=BB2_681 Depth=2
	v_bfrev_b32_e32 v3, 1
	s_mov_b32 s21, exec_lo
	v_cmpx_ne_u32_e32 0x80, v30
	s_cbranch_execz .LBB2_1177
; %bb.1170:                             ;   in Loop: Header=BB2_681 Depth=2
	v_and_b32_e32 v3, 0x7c000000, v4
	v_bfe_u32 v62, v4, 24, 2
	s_delay_alu instid0(VALU_DEP_2) | instskip(SKIP_1) | instid1(SALU_CYCLE_1)
	v_cmp_ne_u32_e32 vcc_lo, 0x7c000000, v3
                                        ; implicit-def: $vgpr3
	s_and_saveexec_b32 s22, vcc_lo
	s_xor_b32 s22, exec_lo, s22
	s_cbranch_execz .LBB2_1174
; %bb.1171:                             ;   in Loop: Header=BB2_681 Depth=2
	v_bfe_u32 v3, v4, 26, 5
	s_mov_b32 s23, exec_lo
	s_delay_alu instid0(VALU_DEP_1)
	v_cmpx_eq_u32_e32 0, v3
; %bb.1172:                             ;   in Loop: Header=BB2_681 Depth=2
	v_clz_i32_u32_e32 v3, v62
	s_delay_alu instid0(VALU_DEP_1) | instskip(NEXT) | instid1(VALU_DEP_1)
	v_min_u32_e32 v3, 32, v3
	v_subrev_nc_u32_e32 v40, 29, v3
	s_delay_alu instid0(VALU_DEP_1) | instskip(NEXT) | instid1(VALU_DEP_1)
	v_lshlrev_b64_e32 v[40:41], v40, v[30:31]
	v_dual_sub_nc_u32 v3, 30, v3 :: v_dual_bitop2_b32 v62, 3, v40 bitop3:0x40
; %bb.1173:                             ;   in Loop: Header=BB2_681 Depth=2
	s_or_b32 exec_lo, exec_lo, s23
	v_and_b32_e32 v4, 0x80000000, v4
                                        ; implicit-def: $vgpr40_vgpr41
	s_delay_alu instid0(VALU_DEP_1) | instskip(NEXT) | instid1(VALU_DEP_1)
	v_lshl_add_u32 v3, v3, 23, v4
	v_lshl_or_b32 v3, v62, 21, v3
                                        ; implicit-def: $vgpr62
	s_delay_alu instid0(VALU_DEP_1)
	v_add_nc_u32_e32 v3, 0x38000000, v3
.LBB2_1174:                             ;   in Loop: Header=BB2_681 Depth=2
	s_and_not1_saveexec_b32 s22, s22
; %bb.1175:                             ;   in Loop: Header=BB2_681 Depth=2
	v_cmp_lt_i64_e32 vcc_lo, -1, v[40:41]
	v_cndmask_b32_e32 v3, 0xff800000, v21, vcc_lo
	v_cmp_eq_u32_e32 vcc_lo, 0, v62
	s_delay_alu instid0(VALU_DEP_2)
	v_cndmask_b32_e32 v3, 0x7f800001, v3, vcc_lo
; %bb.1176:                             ;   in Loop: Header=BB2_681 Depth=2
	s_or_b32 exec_lo, exec_lo, s22
.LBB2_1177:                             ;   in Loop: Header=BB2_681 Depth=2
	s_delay_alu instid0(SALU_CYCLE_1)
	s_or_b32 exec_lo, exec_lo, s21
.LBB2_1178:                             ;   in Loop: Header=BB2_681 Depth=2
	s_delay_alu instid0(SALU_CYCLE_1) | instskip(NEXT) | instid1(SALU_CYCLE_1)
	s_or_b32 exec_lo, exec_lo, s20
	s_mov_b32 s20, exec_lo
	v_cmpx_lt_u32_e32 0xffffff, v54
	s_cbranch_execz .LBB2_1188
; %bb.1179:                             ;   in Loop: Header=BB2_681 Depth=2
	v_bfrev_b32_e32 v5, 1
	s_mov_b32 s21, exec_lo
	v_cmpx_ne_u32_e32 0x80, v2
	s_cbranch_execz .LBB2_1187
; %bb.1180:                             ;   in Loop: Header=BB2_681 Depth=2
	v_and_b32_e32 v5, 0x7c000000, v54
	v_bfe_u32 v4, v54, 24, 2
	s_delay_alu instid0(VALU_DEP_2) | instskip(SKIP_1) | instid1(SALU_CYCLE_1)
	v_cmp_ne_u32_e32 vcc_lo, 0x7c000000, v5
                                        ; implicit-def: $vgpr5
	s_and_saveexec_b32 s22, vcc_lo
	s_xor_b32 s22, exec_lo, s22
	s_cbranch_execz .LBB2_1184
; %bb.1181:                             ;   in Loop: Header=BB2_681 Depth=2
	v_bfe_u32 v5, v54, 26, 5
	s_mov_b32 s23, exec_lo
	s_delay_alu instid0(VALU_DEP_1)
	v_cmpx_eq_u32_e32 0, v5
; %bb.1182:                             ;   in Loop: Header=BB2_681 Depth=2
	v_clz_i32_u32_e32 v4, v4
	s_delay_alu instid0(VALU_DEP_1) | instskip(NEXT) | instid1(VALU_DEP_1)
	v_min_u32_e32 v30, 32, v4
	v_subrev_nc_u32_e32 v4, 29, v30
	s_delay_alu instid0(VALU_DEP_1) | instskip(NEXT) | instid1(VALU_DEP_1)
	v_lshlrev_b64_e32 v[4:5], v4, v[2:3]
	v_dual_sub_nc_u32 v5, 30, v30 :: v_dual_bitop2_b32 v4, 3, v4 bitop3:0x40
; %bb.1183:                             ;   in Loop: Header=BB2_681 Depth=2
	s_or_b32 exec_lo, exec_lo, s23
	v_and_b32_e32 v2, 0x80000000, v54
                                        ; implicit-def: $vgpr118_vgpr119
	s_delay_alu instid0(VALU_DEP_1) | instskip(NEXT) | instid1(VALU_DEP_1)
	v_lshl_add_u32 v2, v5, 23, v2
	v_lshl_or_b32 v2, v4, 21, v2
                                        ; implicit-def: $vgpr4
	s_delay_alu instid0(VALU_DEP_1)
	v_add_nc_u32_e32 v5, 0x38000000, v2
.LBB2_1184:                             ;   in Loop: Header=BB2_681 Depth=2
	s_and_not1_saveexec_b32 s22, s22
; %bb.1185:                             ;   in Loop: Header=BB2_681 Depth=2
	v_cmp_lt_i64_e32 vcc_lo, -1, v[118:119]
	v_cndmask_b32_e32 v2, 0xff800000, v21, vcc_lo
	v_cmp_eq_u32_e32 vcc_lo, 0, v4
	s_delay_alu instid0(VALU_DEP_2)
	v_cndmask_b32_e32 v5, 0x7f800001, v2, vcc_lo
; %bb.1186:                             ;   in Loop: Header=BB2_681 Depth=2
	s_or_b32 exec_lo, exec_lo, s22
.LBB2_1187:                             ;   in Loop: Header=BB2_681 Depth=2
	s_delay_alu instid0(SALU_CYCLE_1)
	s_or_b32 exec_lo, exec_lo, s21
.LBB2_1188:                             ;   in Loop: Header=BB2_681 Depth=2
	s_delay_alu instid0(SALU_CYCLE_1) | instskip(NEXT) | instid1(VALU_DEP_1)
	s_or_b32 exec_lo, exec_lo, s20
	v_dual_max_num_f32 v2, v5, v5 :: v_dual_max_num_f32 v3, v3, v3
	s_delay_alu instid0(VALU_DEP_1)
	v_min_num_f32_e32 v3, v3, v2
.LBB2_1189:                             ;   in Loop: Header=BB2_681 Depth=2
	s_or_b32 exec_lo, exec_lo, s8
	s_delay_alu instid0(VALU_DEP_1) | instskip(SKIP_2) | instid1(VALU_DEP_2)
	v_and_b32_e32 v4, 0x7f800000, v3
	v_mov_b32_e32 v5, v55
	v_and_b32_e32 v54, 0x7fffff, v3
                                        ; implicit-def: $vgpr2
	v_cmp_ne_u64_e32 vcc_lo, 0x7f800000, v[4:5]
	v_lshrrev_b32_e32 v4, 24, v3
	s_and_saveexec_b32 s8, vcc_lo
	s_delay_alu instid0(SALU_CYCLE_1)
	s_xor_b32 s20, exec_lo, s8
	s_cbranch_execz .LBB2_1203
; %bb.1190:                             ;   in Loop: Header=BB2_681 Depth=2
	v_and_b32_e32 v118, 0x7fffffff, v3
	v_mov_b32_e32 v119, v55
	v_and_b32_e32 v30, 0x80, v4
                                        ; implicit-def: $vgpr2
	s_mov_b32 s8, exec_lo
	s_delay_alu instid0(VALU_DEP_2)
	v_cmpx_gt_u64_e32 0x47600001, v[118:119]
	s_xor_b32 s21, exec_lo, s8
	s_cbranch_execz .LBB2_1200
; %bb.1191:                             ;   in Loop: Header=BB2_681 Depth=2
	v_mov_b32_e32 v2, 0
	s_mov_b32 s22, exec_lo
	v_cmpx_ne_u32_e32 0, v3
	s_cbranch_execz .LBB2_1199
; %bb.1192:                             ;   in Loop: Header=BB2_681 Depth=2
	v_bfe_u32 v118, v3, 23, 8
	v_or_b32_e32 v4, 0x800000, v54
	s_delay_alu instid0(VALU_DEP_2) | instskip(SKIP_1) | instid1(VALU_DEP_2)
	v_sub_nc_u32_e32 v2, 0x71, v118
	v_cmp_gt_u32_e32 vcc_lo, 0x72, v118
	v_cndmask_b32_e32 v2, 0, v2, vcc_lo
	v_cmp_eq_u32_e32 vcc_lo, 0, v118
	s_delay_alu instid0(VALU_DEP_2) | instskip(NEXT) | instid1(VALU_DEP_1)
	v_cndmask_b32_e64 v119, v2, 0x70, vcc_lo
	v_dual_cndmask_b32 v54, v4, v54, vcc_lo :: v_dual_add_nc_u32 v2, 21, v119
	v_add_nc_u32_e32 v5, 20, v119
	s_delay_alu instid0(VALU_DEP_2) | instskip(NEXT) | instid1(VALU_DEP_2)
	v_lshlrev_b64_e64 v[2:3], v2, -1
	v_lshlrev_b64_e64 v[4:5], v5, 1
	s_delay_alu instid0(VALU_DEP_2) | instskip(NEXT) | instid1(VALU_DEP_3)
	v_bfi_b32 v41, v3, 0, 0
	v_bfi_b32 v40, v2, 0, v54
	v_lshrrev_b64 v[2:3], v119, v[54:55]
	s_delay_alu instid0(VALU_DEP_2) | instskip(NEXT) | instid1(VALU_DEP_2)
	v_cmp_eq_u64_e64 s8, v[40:41], v[4:5]
	v_mov_b64_e32 v[4:5], v[2:3]
	s_and_saveexec_b32 s23, s8
; %bb.1193:                             ;   in Loop: Header=BB2_681 Depth=2
	v_bfe_u32 v54, v2, 21, 1
	s_delay_alu instid0(VALU_DEP_1) | instskip(NEXT) | instid1(VALU_DEP_1)
	v_add_nc_u64_e32 v[4:5], v[2:3], v[54:55]
	v_add_nc_u64_e32 v[4:5], -1, v[4:5]
; %bb.1194:                             ;   in Loop: Header=BB2_681 Depth=2
	s_or_b32 exec_lo, exec_lo, s23
	v_add_nc_u32_e32 v3, 0xffffff81, v118
	v_lshrrev_b32_e32 v5, 23, v2
	s_mov_b32 s8, exec_lo
	s_delay_alu instid0(VALU_DEP_2) | instskip(NEXT) | instid1(VALU_DEP_1)
	v_cndmask_b32_e64 v3, v3, 0xffffff82, vcc_lo
	v_add3_u32 v5, v119, v3, v5
	v_and_b32_e32 v3, 0x1fffff, v4
                                        ; implicit-def: $vgpr4
	s_delay_alu instid0(VALU_DEP_1) | instskip(NEXT) | instid1(VALU_DEP_1)
	v_dual_add_nc_u32 v118, 14, v5 :: v_dual_add_nc_u32 v54, v3, v2
                                        ; implicit-def: $vgpr2_vgpr3
	v_cmpx_ne_u32_e32 0, v118
	s_xor_b32 s8, exec_lo, s8
; %bb.1195:                             ;   in Loop: Header=BB2_681 Depth=2
	s_delay_alu instid0(VALU_DEP_2) | instskip(SKIP_1) | instid1(VALU_DEP_1)
	v_cmp_lt_u64_e32 vcc_lo, 0xffffff, v[54:55]
	v_add_nc_u32_e32 v2, 15, v5
	v_cndmask_b32_e32 v4, v118, v2, vcc_lo
	v_cndmask_b32_e64 v2, 0, 1, vcc_lo
	s_delay_alu instid0(VALU_DEP_1)
	v_lshrrev_b64 v[2:3], v2, v[54:55]
; %bb.1196:                             ;   in Loop: Header=BB2_681 Depth=2
	s_and_not1_saveexec_b32 s8, s8
; %bb.1197:                             ;   in Loop: Header=BB2_681 Depth=2
	v_mov_b64_e32 v[2:3], v[54:55]
	v_bfe_u32 v4, v54, 23, 1
; %bb.1198:                             ;   in Loop: Header=BB2_681 Depth=2
	s_or_b32 exec_lo, exec_lo, s8
	s_delay_alu instid0(VALU_DEP_2) | instskip(NEXT) | instid1(VALU_DEP_2)
	v_lshrrev_b64 v[2:3], 21, v[2:3]
	v_cmp_gt_i32_e32 vcc_lo, 32, v4
	v_min_i32_e32 v5, 31, v4
	v_cmp_eq_u32_e64 s8, 0, v4
	s_delay_alu instid0(VALU_DEP_2) | instskip(SKIP_1) | instid1(VALU_DEP_2)
	v_dual_cndmask_b32 v3, 0, v3, vcc_lo :: v_dual_lshlrev_b32 v5, 2, v5
	v_cndmask_b32_e32 v2, 3, v2, vcc_lo
	v_and_b32_e32 v5, 0xfc, v5
	s_delay_alu instid0(VALU_DEP_2) | instskip(NEXT) | instid1(VALU_DEP_2)
	v_cmp_eq_u64_e32 vcc_lo, 0, v[2:3]
	v_and_or_b32 v2, v2, 3, v5
	s_and_b32 s8, s8, vcc_lo
	s_delay_alu instid0(VALU_DEP_1) | instid1(SALU_CYCLE_1)
	v_cndmask_b32_e64 v2, v2, 0, s8
	s_delay_alu instid0(VALU_DEP_1)
	v_or_b32_e32 v2, v2, v30
.LBB2_1199:                             ;   in Loop: Header=BB2_681 Depth=2
	s_or_b32 exec_lo, exec_lo, s22
                                        ; implicit-def: $vgpr30
.LBB2_1200:                             ;   in Loop: Header=BB2_681 Depth=2
	s_and_not1_saveexec_b32 s8, s21
; %bb.1201:                             ;   in Loop: Header=BB2_681 Depth=2
	v_or_b32_e32 v2, 0x7b, v30
; %bb.1202:                             ;   in Loop: Header=BB2_681 Depth=2
	s_or_b32 exec_lo, exec_lo, s8
                                        ; implicit-def: $vgpr3
                                        ; implicit-def: $vgpr4
.LBB2_1203:                             ;   in Loop: Header=BB2_681 Depth=2
	s_and_not1_saveexec_b32 s8, s20
	s_cbranch_execz .LBB2_1209
; %bb.1204:                             ;   in Loop: Header=BB2_681 Depth=2
	s_mov_b32 s20, exec_lo
                                        ; implicit-def: $vgpr2
	v_cmpx_ne_u64_e32 0, v[54:55]
	s_xor_b32 s20, exec_lo, s20
; %bb.1205:                             ;   in Loop: Header=BB2_681 Depth=2
	v_or_b32_e32 v2, 0x7f, v4
                                        ; implicit-def: $vgpr3
; %bb.1206:                             ;   in Loop: Header=BB2_681 Depth=2
	s_and_not1_saveexec_b32 s20, s20
; %bb.1207:                             ;   in Loop: Header=BB2_681 Depth=2
	v_cmp_lt_i32_e32 vcc_lo, -1, v3
	v_cndmask_b32_e32 v2, 0xfc, v58, vcc_lo
; %bb.1208:                             ;   in Loop: Header=BB2_681 Depth=2
	s_or_b32 exec_lo, exec_lo, s20
.LBB2_1209:                             ;   in Loop: Header=BB2_681 Depth=2
	s_delay_alu instid0(SALU_CYCLE_1) | instskip(SKIP_1) | instid1(VALU_DEP_2)
	s_or_b32 exec_lo, exec_lo, s8
	v_dual_lshlrev_b32 v3, 16, v44 :: v_dual_lshlrev_b32 v4, 16, v61
	v_dual_lshlrev_b32 v5, 24, v47 :: v_dual_lshlrev_b32 v30, 24, v2
	v_cmp_lt_u32_e32 vcc_lo, 7, v60
	s_delay_alu instid0(VALU_DEP_3) | instskip(NEXT) | instid1(VALU_DEP_4)
	v_lshl_or_b32 v2, v43, 8, v3
	v_lshl_or_b32 v3, v46, 8, v4
	s_mov_b32 s8, -1
	s_cmp_lg_u32 vcc_lo, exec_lo
	s_delay_alu instid0(VALU_DEP_2) | instskip(NEXT) | instid1(VALU_DEP_2)
	v_or3_b32 v2, v2, v5, v117
	v_or3_b32 v3, v3, v30, v45
	s_cbranch_scc0 .LBB2_1225
; %bb.1210:                             ;   in Loop: Header=BB2_681 Depth=2
	s_mov_b32 s20, exec_lo
	flat_store_b8 v[18:19], v117
	s_wait_xcnt 0x0
	v_cmpx_ne_u32_e32 1, v60
	s_cbranch_execz .LBB2_1212
; %bb.1211:                             ;   in Loop: Header=BB2_681 Depth=2
	v_lshrrev_b32_e32 v4, 8, v2
	flat_store_b8 v[18:19], v4 offset:1
.LBB2_1212:                             ;   in Loop: Header=BB2_681 Depth=2
	s_wait_xcnt 0x0
	s_or_b32 exec_lo, exec_lo, s20
	s_delay_alu instid0(SALU_CYCLE_1)
	s_mov_b32 s20, exec_lo
	v_cmpx_lt_u32_e32 2, v60
	s_cbranch_execz .LBB2_1214
; %bb.1213:                             ;   in Loop: Header=BB2_681 Depth=2
	flat_store_d16_hi_b8 v[18:19], v2 offset:2
.LBB2_1214:                             ;   in Loop: Header=BB2_681 Depth=2
	s_wait_xcnt 0x0
	s_or_b32 exec_lo, exec_lo, s20
	s_delay_alu instid0(SALU_CYCLE_1)
	s_mov_b32 s20, exec_lo
	v_cmpx_lt_u32_e32 3, v60
	s_cbranch_execz .LBB2_1216
; %bb.1215:                             ;   in Loop: Header=BB2_681 Depth=2
	v_lshrrev_b32_e32 v4, 24, v2
	flat_store_b8 v[18:19], v4 offset:3
.LBB2_1216:                             ;   in Loop: Header=BB2_681 Depth=2
	s_wait_xcnt 0x0
	s_or_b32 exec_lo, exec_lo, s20
	s_delay_alu instid0(SALU_CYCLE_1)
	s_mov_b32 s20, exec_lo
	v_cmpx_lt_u32_e32 4, v60
	s_cbranch_execz .LBB2_1218
; %bb.1217:                             ;   in Loop: Header=BB2_681 Depth=2
	flat_store_b8 v[18:19], v45 offset:4
.LBB2_1218:                             ;   in Loop: Header=BB2_681 Depth=2
	s_wait_xcnt 0x0
	s_or_b32 exec_lo, exec_lo, s20
	s_delay_alu instid0(SALU_CYCLE_1)
	s_mov_b32 s20, exec_lo
	v_cmpx_lt_u32_e32 5, v60
	s_cbranch_execz .LBB2_1220
; %bb.1219:                             ;   in Loop: Header=BB2_681 Depth=2
	v_lshrrev_b32_e32 v4, 8, v3
	flat_store_b8 v[18:19], v4 offset:5
.LBB2_1220:                             ;   in Loop: Header=BB2_681 Depth=2
	s_wait_xcnt 0x0
	s_or_b32 exec_lo, exec_lo, s20
	s_delay_alu instid0(SALU_CYCLE_1)
	s_mov_b32 s20, exec_lo
	v_cmpx_lt_u32_e32 6, v60
	s_cbranch_execz .LBB2_1222
; %bb.1221:                             ;   in Loop: Header=BB2_681 Depth=2
	flat_store_d16_hi_b8 v[18:19], v3 offset:6
.LBB2_1222:                             ;   in Loop: Header=BB2_681 Depth=2
	s_wait_xcnt 0x0
	s_or_b32 exec_lo, exec_lo, s20
	s_and_saveexec_b32 s8, vcc_lo
	s_cbranch_execz .LBB2_1224
; %bb.1223:                             ;   in Loop: Header=BB2_681 Depth=2
	v_lshrrev_b32_e32 v4, 24, v3
	flat_store_b8 v[18:19], v4 offset:7
.LBB2_1224:                             ;   in Loop: Header=BB2_681 Depth=2
	s_wait_xcnt 0x0
	s_or_b32 exec_lo, exec_lo, s8
	s_mov_b32 s8, 0
.LBB2_1225:                             ;   in Loop: Header=BB2_681 Depth=2
	s_delay_alu instid0(SALU_CYCLE_1)
	s_and_b32 vcc_lo, exec_lo, s8
	s_cbranch_vccz .LBB2_680
; %bb.1226:                             ;   in Loop: Header=BB2_681 Depth=2
	global_store_b64 v[18:19], v[2:3], off
	s_branch .LBB2_680
.LBB2_1227:                             ;   in Loop: Header=BB2_36 Depth=1
	s_or_b32 exec_lo, exec_lo, s19
	s_delay_alu instid0(SALU_CYCLE_1)
	s_or_b32 exec_lo, exec_lo, s9
	s_and_saveexec_b32 s8, s3
	s_cbranch_execz .LBB2_678
.LBB2_1228:                             ;   in Loop: Header=BB2_36 Depth=1
	s_and_saveexec_b32 s9, s4
	s_delay_alu instid0(SALU_CYCLE_1)
	s_xor_b32 s9, exec_lo, s9
	s_cbranch_execz .LBB2_1243
; %bb.1229:                             ;   in Loop: Header=BB2_36 Depth=1
	s_and_saveexec_b32 s19, s5
	s_cbranch_execz .LBB2_1242
; %bb.1230:                             ;   in Loop: Header=BB2_36 Depth=1
	s_mov_b32 s21, exec_lo
	s_mov_b32 s20, exec_lo
	v_mbcnt_lo_u32_b32 v2, s21, 0
	global_wb scope:SCOPE_DEV
	s_wait_storecnt 0x0
	s_wait_loadcnt_dscnt 0x0
	global_inv scope:SCOPE_DEV
	v_cmpx_eq_u32_e32 0, v2
	s_cbranch_execz .LBB2_1232
; %bb.1231:                             ;   in Loop: Header=BB2_36 Depth=1
	s_bcnt1_i32_b32 s21, s21
	s_delay_alu instid0(SALU_CYCLE_1)
	v_mov_b32_e32 v54, s21
	s_wait_loadcnt 0x0
	ds_add_u64 v0, v[54:55]
	s_trap 2
.LBB2_1232:                             ;   in Loop: Header=BB2_36 Depth=1
	s_or_b32 exec_lo, exec_lo, s20
	s_trap 2
	ds_load_b64 v[2:3], v0
	s_wait_dscnt 0x0
	v_add_nc_u64_e32 v[52:53], v[52:53], v[82:83]
	s_mov_b32 s20, exec_lo
	s_delay_alu instid0(VALU_DEP_1)
	v_cmpx_lt_u64_e64 v[2:3], v[52:53]
	s_cbranch_execz .LBB2_1241
; %bb.1233:                             ;   in Loop: Header=BB2_36 Depth=1
	s_mov_b32 s21, 0
	s_mov_b32 s24, 0
                                        ; implicit-def: $sgpr22
                                        ; implicit-def: $sgpr23
	s_branch .LBB2_1235
.LBB2_1234:                             ;   in Loop: Header=BB2_1235 Depth=2
	s_or_b32 exec_lo, exec_lo, s26
	s_delay_alu instid0(SALU_CYCLE_1) | instskip(NEXT) | instid1(SALU_CYCLE_1)
	s_and_b32 s25, exec_lo, s27
	s_or_b32 s21, s25, s21
	s_and_not1_b32 s22, s22, exec_lo
	s_and_b32 s25, s23, exec_lo
	s_delay_alu instid0(SALU_CYCLE_1)
	s_or_b32 s22, s22, s25
	s_and_not1_b32 exec_lo, exec_lo, s21
	s_cbranch_execz .LBB2_1239
.LBB2_1235:                             ;   Parent Loop BB2_36 Depth=1
                                        ; =>  This Inner Loop Header: Depth=2
	s_add_co_i32 s24, s24, 1
	s_delay_alu instid0(SALU_CYCLE_1) | instskip(SKIP_1) | instid1(SALU_CYCLE_1)
	s_cmp_lg_u32 s24, 0x2710
	s_cselect_b32 s25, -1, 0
	s_and_b32 vcc_lo, exec_lo, s25
	s_cbranch_vccz .LBB2_1237
; %bb.1236:                             ;   in Loop: Header=BB2_1235 Depth=2
	s_mov_b32 s27, -1
	s_or_b32 s23, s23, exec_lo
	s_and_saveexec_b32 s26, s25
	s_cbranch_execz .LBB2_1234
	s_branch .LBB2_1238
.LBB2_1237:                             ;   in Loop: Header=BB2_1235 Depth=2
	s_trap 2
	ds_load_b64 v[2:3], v0
	s_and_not1_b32 s25, s25, exec_lo
	s_mov_b32 s24, 0
	s_wait_loadcnt_dscnt 0x0
	flat_load_b32 v2, v[2:3] scope:SCOPE_SYS
	s_wait_loadcnt_dscnt 0x0
	global_inv scope:SCOPE_SYS
	v_cmp_eq_u32_e32 vcc_lo, 0, v2
	s_and_b32 s26, vcc_lo, exec_lo
	s_delay_alu instid0(SALU_CYCLE_1)
	s_or_b32 s25, s25, s26
	s_mov_b32 s27, -1
	s_or_b32 s23, s23, exec_lo
	s_and_saveexec_b32 s26, s25
	s_cbranch_execz .LBB2_1234
.LBB2_1238:                             ;   in Loop: Header=BB2_1235 Depth=2
	s_sleep 1
	s_trap 2
	ds_load_b64 v[2:3], v0
	s_wait_dscnt 0x0
	s_and_not1_b32 s23, s23, exec_lo
	v_cmp_ge_u64_e32 vcc_lo, v[2:3], v[52:53]
	s_or_not1_b32 s27, vcc_lo, exec_lo
	s_branch .LBB2_1234
.LBB2_1239:                             ;   in Loop: Header=BB2_36 Depth=1
	s_or_b32 exec_lo, exec_lo, s21
	s_and_saveexec_b32 s21, s22
	s_delay_alu instid0(SALU_CYCLE_1)
	s_xor_b32 s21, exec_lo, s21
	s_cbranch_execz .LBB2_1241
; %bb.1240:                             ;   in Loop: Header=BB2_36 Depth=1
	ds_store_b32 v0, v1
	s_trap 2
.LBB2_1241:                             ;   in Loop: Header=BB2_36 Depth=1
	s_or_b32 exec_lo, exec_lo, s20
	;;#ASMSTART
	s_wakeup
	;;#ASMEND
.LBB2_1242:                             ;   in Loop: Header=BB2_36 Depth=1
	s_or_b32 exec_lo, exec_lo, s19
.LBB2_1243:                             ;   in Loop: Header=BB2_36 Depth=1
	s_and_not1_saveexec_b32 s9, s9
	s_cbranch_execz .LBB2_1245
; %bb.1244:                             ;   in Loop: Header=BB2_36 Depth=1
	global_wb scope:SCOPE_DEV
	s_wait_storecnt 0x0
	s_wait_loadcnt_dscnt 0x0
	global_inv scope:SCOPE_DEV
	s_barrier_signal -1
	s_barrier_wait -1
.LBB2_1245:                             ;   in Loop: Header=BB2_36 Depth=1
	s_or_b32 exec_lo, exec_lo, s9
	s_delay_alu instid0(SALU_CYCLE_1)
	s_or_b32 exec_lo, exec_lo, s8
	s_and_saveexec_b32 s8, s7
	s_cbranch_execz .LBB2_35
.LBB2_1246:                             ;   in Loop: Header=BB2_36 Depth=1
	v_add_nc_u64_e32 v[38:39], 1, v[38:39]
	global_wb scope:SCOPE_SYS
	s_wait_storecnt 0x0
	s_wait_loadcnt_dscnt 0x0
	flat_store_b64 v[48:49], v[38:39] scope:SCOPE_SYS
	s_branch .LBB2_35
.LBB2_1247:
	s_or_b32 exec_lo, exec_lo, s17
	s_delay_alu instid0(SALU_CYCLE_1)
	s_or_b32 exec_lo, exec_lo, s15
	s_and_saveexec_b32 s1, s14
	s_cbranch_execz .LBB2_20
.LBB2_1248:
	s_wait_dscnt 0x0
	flat_store_b64 v[28:29], v[38:39] offset:104
	s_wait_xcnt 0x0
	s_or_b32 exec_lo, exec_lo, s1
	s_and_saveexec_b32 s1, s0
	s_cbranch_execnz .LBB2_21
	s_branch .LBB2_22
.LBB2_1249:
	s_or_b32 exec_lo, exec_lo, s4
	s_and_saveexec_b32 s4, s5
	s_delay_alu instid0(SALU_CYCLE_1)
	s_xor_b32 s4, exec_lo, s4
	s_cbranch_execz .LBB2_1251
; %bb.1250:
	v_mov_b32_e32 v0, 1
	ds_store_b32 v0, v0
	s_trap 2
.LBB2_1251:
	s_or_b32 exec_lo, exec_lo, s3
	;;#ASMSTART
	s_wakeup
	;;#ASMEND
.LBB2_1252:
	s_or_b32 exec_lo, exec_lo, s2
.LBB2_1253:
	s_and_not1_saveexec_b32 s1, s1
	s_cbranch_execz .LBB2_1255
; %bb.1254:
	global_wb scope:SCOPE_DEV
	s_wait_storecnt 0x0
	s_wait_loadcnt_dscnt 0x0
	global_inv scope:SCOPE_DEV
	s_barrier_signal -1
	s_barrier_wait -1
.LBB2_1255:
	s_or_b32 exec_lo, exec_lo, s0
	s_clause 0x17
	scratch_load_b32 v79, off, s32
	scratch_load_b32 v78, off, s32 offset:4
	scratch_load_b32 v77, off, s32 offset:8
	;; [unrolled: 1-line block ×23, first 2 shown]
	s_wait_loadcnt_dscnt 0x0
	s_set_pc_i64 s[30:31]
.Lfunc_end2:
	.size	_ZN12_GLOBAL__N_17runRingI14__hip_fp8_e5m210FuncMinMaxIS1_E7ProtoLLLi0ELi2ELi0EEEviiP15ncclDevWorkColl, .Lfunc_end2-_ZN12_GLOBAL__N_17runRingI14__hip_fp8_e5m210FuncMinMaxIS1_E7ProtoLLLi0ELi2ELi0EEEviiP15ncclDevWorkColl
                                        ; -- End function
	.set .L_ZN12_GLOBAL__N_17runRingI14__hip_fp8_e5m210FuncMinMaxIS1_E7ProtoLLLi0ELi2ELi0EEEviiP15ncclDevWorkColl.num_vgpr, 120
	.set .L_ZN12_GLOBAL__N_17runRingI14__hip_fp8_e5m210FuncMinMaxIS1_E7ProtoLLLi0ELi2ELi0EEEviiP15ncclDevWorkColl.num_agpr, 0
	.set .L_ZN12_GLOBAL__N_17runRingI14__hip_fp8_e5m210FuncMinMaxIS1_E7ProtoLLLi0ELi2ELi0EEEviiP15ncclDevWorkColl.numbered_sgpr, 42
	.set .L_ZN12_GLOBAL__N_17runRingI14__hip_fp8_e5m210FuncMinMaxIS1_E7ProtoLLLi0ELi2ELi0EEEviiP15ncclDevWorkColl.num_named_barrier, 0
	.set .L_ZN12_GLOBAL__N_17runRingI14__hip_fp8_e5m210FuncMinMaxIS1_E7ProtoLLLi0ELi2ELi0EEEviiP15ncclDevWorkColl.private_seg_size, 100
	.set .L_ZN12_GLOBAL__N_17runRingI14__hip_fp8_e5m210FuncMinMaxIS1_E7ProtoLLLi0ELi2ELi0EEEviiP15ncclDevWorkColl.uses_vcc, 1
	.set .L_ZN12_GLOBAL__N_17runRingI14__hip_fp8_e5m210FuncMinMaxIS1_E7ProtoLLLi0ELi2ELi0EEEviiP15ncclDevWorkColl.uses_flat_scratch, 1
	.set .L_ZN12_GLOBAL__N_17runRingI14__hip_fp8_e5m210FuncMinMaxIS1_E7ProtoLLLi0ELi2ELi0EEEviiP15ncclDevWorkColl.has_dyn_sized_stack, 0
	.set .L_ZN12_GLOBAL__N_17runRingI14__hip_fp8_e5m210FuncMinMaxIS1_E7ProtoLLLi0ELi2ELi0EEEviiP15ncclDevWorkColl.has_recursion, 0
	.set .L_ZN12_GLOBAL__N_17runRingI14__hip_fp8_e5m210FuncMinMaxIS1_E7ProtoLLLi0ELi2ELi0EEEviiP15ncclDevWorkColl.has_indirect_call, 0
	.section	.AMDGPU.csdata,"",@progbits
; Function info:
; codeLenInByte = 34952
; TotalNumSgprs: 44
; NumVgprs: 120
; ScratchSize: 100
; MemoryBound: 0
	.text
	.p2align	2                               ; -- Begin function _Z53ncclDevFunc_ReduceScatter_RING_LL_MinMax_f8e5m2_0_0_2v
	.type	_Z53ncclDevFunc_ReduceScatter_RING_LL_MinMax_f8e5m2_0_0_2v,@function
_Z53ncclDevFunc_ReduceScatter_RING_LL_MinMax_f8e5m2_0_0_2v: ; @_Z53ncclDevFunc_ReduceScatter_RING_LL_MinMax_f8e5m2_0_0_2v
; %bb.0:
	s_wait_loadcnt_dscnt 0x0
	s_wait_kmcnt 0x0
	s_mov_b32 s57, s33
	s_mov_b32 s33, s32
	s_or_saveexec_b32 s0, -1
	scratch_store_b32 off, v41, s33 offset:4 ; 4-byte Folded Spill
	s_wait_xcnt 0x0
	s_mov_b32 exec_lo, s0
	s_add_co_i32 s32, s32, 16
	scratch_store_b32 off, v40, s33         ; 4-byte Folded Spill
	v_writelane_b32 v41, s30, 0
	v_writelane_b32 v41, s31, 1
	s_trap 2
	ds_load_b32 v0, v0
	s_wait_xcnt 0x0
	v_and_b32_e32 v40, 0x3ff, v31
	s_mov_b32 s44, s12
	s_mov_b64 s[42:43], s[8:9]
	s_mov_b32 s2, exec_lo
	s_wait_dscnt 0x0
	v_cmpx_lt_i32_e64 v40, v0
	s_cbranch_execz .LBB3_5
; %bb.1:
	s_load_b32 s0, s[42:43], 0x0
	s_bfe_u32 s1, ttmp6, 0x4000c
	s_and_b32 s3, ttmp6, 15
	s_add_co_i32 s1, s1, 1
	s_getreg_b32 s4, hwreg(HW_REG_IB_STS2, 6, 4)
	s_mul_i32 s1, ttmp9, s1
	v_mov_b32_e32 v2, v40
	s_add_co_i32 s3, s3, s1
	s_cmp_eq_u32 s4, 0
                                        ; implicit-def: $vgpr3
	s_cselect_b32 s1, ttmp9, s3
	s_mov_b32 s3, 0
	s_wait_kmcnt 0x0
	s_cmp_lt_u32 s1, s0
	s_mov_b32 s1, 0
	s_cselect_b32 s0, 12, 18
	s_delay_alu instid0(SALU_CYCLE_1)
	s_add_nc_u64 s[4:5], s[42:43], s[0:1]
	s_load_u16 s0, s[4:5], 0x0
	s_trap 2
	ds_load_b32 v1, v0
	s_wait_dscnt 0x0
	s_wait_kmcnt 0x0
	v_mul_lo_u32 v1, v1, s0
	s_branch .LBB3_3
.LBB3_2:                                ;   in Loop: Header=BB3_3 Depth=1
	s_or_b32 exec_lo, exec_lo, s4
	v_dual_add_nc_u32 v2, s0, v2 :: v_dual_add_nc_u32 v3, v3, v1
	s_delay_alu instid0(VALU_DEP_1) | instskip(SKIP_1) | instid1(SALU_CYCLE_1)
	v_cmp_ge_i32_e32 vcc_lo, v2, v0
	s_or_b32 s3, vcc_lo, s3
	s_and_not1_b32 exec_lo, exec_lo, s3
	s_cbranch_execz .LBB3_5
.LBB3_3:                                ; =>This Inner Loop Header: Depth=1
	ds_load_b32 v4, v3
	s_mov_b32 s4, exec_lo
	s_wait_dscnt 0x0
	v_and_b32_e32 v4, 0x1000000, v4
	s_delay_alu instid0(VALU_DEP_1)
	v_cmpx_ne_u32_e32 0, v4
	s_cbranch_execz .LBB3_2
; %bb.4:                                ;   in Loop: Header=BB3_3 Depth=1
	ds_load_b64 v[4:5], v3 offset:104
	s_wait_dscnt 0x0
	flat_load_u8 v4, v[4:5]
	s_wait_xcnt 0x0
	v_mov_b32_e32 v5, s1
	s_wait_loadcnt_dscnt 0x0
	v_and_b32_e32 v4, 0xffff, v4
	ds_store_b64 v3, v[4:5] offset:104
	s_branch .LBB3_2
.LBB3_5:
	s_or_b32 exec_lo, exec_lo, s2
	s_wait_storecnt_dscnt 0x0
	s_barrier_signal -1
	s_barrier_wait -1
	s_trap 2
	ds_load_b32 v0, v0
	s_wait_dscnt 0x0
	v_cmp_gt_i32_e32 vcc_lo, 1, v0
	s_cbranch_vccnz .LBB3_13
; %bb.6:
	s_mov_b32 s45, 0
	s_get_pc_i64 s[46:47]
	s_add_nc_u64 s[46:47], s[46:47], _ZN12_GLOBAL__N_17runRingI14__hip_fp8_e5m210FuncMinMaxIS1_E7ProtoLLLi0ELi2ELi0EEEviiP15ncclDevWorkColl@rel64+4
	s_branch .LBB3_8
.LBB3_7:                                ;   in Loop: Header=BB3_8 Depth=1
	s_or_b32 exec_lo, exec_lo, s56
	s_trap 2
	ds_load_b32 v0, v0
	s_add_co_i32 s45, s45, 1
	s_wait_dscnt 0x0
	v_cmp_lt_i32_e32 vcc_lo, s45, v0
	s_cbranch_vccz .LBB3_13
.LBB3_8:                                ; =>This Inner Loop Header: Depth=1
	s_trap 2
	ds_load_b32 v0, v0
	s_cmp_eq_u32 s45, 0
	s_cbranch_scc1 .LBB3_11
; %bb.9:                                ;   in Loop: Header=BB3_8 Depth=1
	s_trap 2
	s_wait_dscnt 0x0
	ds_load_b32 v1, v0
	s_wait_dscnt 0x0
	v_xor_b32_e32 v1, v1, v0
	s_delay_alu instid0(VALU_DEP_1) | instskip(NEXT) | instid1(VALU_DEP_1)
	v_and_b32_e32 v1, 0xff0000, v1
	v_cmp_eq_u32_e32 vcc_lo, 0, v1
	s_cbranch_vccnz .LBB3_11
; %bb.10:                               ;   in Loop: Header=BB3_8 Depth=1
	s_barrier_signal -1
	s_barrier_wait -1
	ds_load_b32 v0, v0
.LBB3_11:                               ;   in Loop: Header=BB3_8 Depth=1
	s_wait_dscnt 0x0
	v_lshrrev_b32_e32 v0, 11, v0
	s_mov_b32 s56, exec_lo
	s_delay_alu instid0(VALU_DEP_1) | instskip(NEXT) | instid1(VALU_DEP_1)
	v_and_b32_e32 v1, 0x1fe0, v0
	v_cmpx_lt_u32_e64 v40, v1
	s_cbranch_execz .LBB3_7
; %bb.12:                               ;   in Loop: Header=BB3_8 Depth=1
	s_mov_b64 s[0:1], src_shared_base
	s_delay_alu instid0(SALU_CYCLE_1)
	v_dual_mov_b32 v0, v40 :: v_dual_mov_b32 v3, s1
	s_mov_b64 s[8:9], s[42:43]
	s_mov_b32 s12, s44
	s_swap_pc_i64 s[30:31], s[46:47]
	s_branch .LBB3_7
.LBB3_13:
	scratch_load_b32 v40, off, s33          ; 4-byte Folded Reload
	v_readlane_b32 s30, v41, 0
	v_readlane_b32 s31, v41, 1
	s_mov_b32 s32, s33
	s_wait_xcnt 0x0
	s_or_saveexec_b32 s0, -1
	scratch_load_b32 v41, off, s33 offset:4 ; 4-byte Folded Reload
	s_wait_xcnt 0x0
	s_mov_b32 exec_lo, s0
	s_mov_b32 s33, s57
	s_wait_loadcnt 0x0
	s_set_pc_i64 s[30:31]
.Lfunc_end3:
	.size	_Z53ncclDevFunc_ReduceScatter_RING_LL_MinMax_f8e5m2_0_0_2v, .Lfunc_end3-_Z53ncclDevFunc_ReduceScatter_RING_LL_MinMax_f8e5m2_0_0_2v
                                        ; -- End function
	.set .L_Z53ncclDevFunc_ReduceScatter_RING_LL_MinMax_f8e5m2_0_0_2v.num_vgpr, max(42, .L_ZN12_GLOBAL__N_17runRingI14__hip_fp8_e5m210FuncMinMaxIS1_E7ProtoLLLi0ELi2ELi0EEEviiP15ncclDevWorkColl.num_vgpr)
	.set .L_Z53ncclDevFunc_ReduceScatter_RING_LL_MinMax_f8e5m2_0_0_2v.num_agpr, max(0, .L_ZN12_GLOBAL__N_17runRingI14__hip_fp8_e5m210FuncMinMaxIS1_E7ProtoLLLi0ELi2ELi0EEEviiP15ncclDevWorkColl.num_agpr)
	.set .L_Z53ncclDevFunc_ReduceScatter_RING_LL_MinMax_f8e5m2_0_0_2v.numbered_sgpr, max(58, .L_ZN12_GLOBAL__N_17runRingI14__hip_fp8_e5m210FuncMinMaxIS1_E7ProtoLLLi0ELi2ELi0EEEviiP15ncclDevWorkColl.numbered_sgpr)
	.set .L_Z53ncclDevFunc_ReduceScatter_RING_LL_MinMax_f8e5m2_0_0_2v.num_named_barrier, max(0, .L_ZN12_GLOBAL__N_17runRingI14__hip_fp8_e5m210FuncMinMaxIS1_E7ProtoLLLi0ELi2ELi0EEEviiP15ncclDevWorkColl.num_named_barrier)
	.set .L_Z53ncclDevFunc_ReduceScatter_RING_LL_MinMax_f8e5m2_0_0_2v.private_seg_size, 16+max(.L_ZN12_GLOBAL__N_17runRingI14__hip_fp8_e5m210FuncMinMaxIS1_E7ProtoLLLi0ELi2ELi0EEEviiP15ncclDevWorkColl.private_seg_size)
	.set .L_Z53ncclDevFunc_ReduceScatter_RING_LL_MinMax_f8e5m2_0_0_2v.uses_vcc, or(1, .L_ZN12_GLOBAL__N_17runRingI14__hip_fp8_e5m210FuncMinMaxIS1_E7ProtoLLLi0ELi2ELi0EEEviiP15ncclDevWorkColl.uses_vcc)
	.set .L_Z53ncclDevFunc_ReduceScatter_RING_LL_MinMax_f8e5m2_0_0_2v.uses_flat_scratch, or(0, .L_ZN12_GLOBAL__N_17runRingI14__hip_fp8_e5m210FuncMinMaxIS1_E7ProtoLLLi0ELi2ELi0EEEviiP15ncclDevWorkColl.uses_flat_scratch)
	.set .L_Z53ncclDevFunc_ReduceScatter_RING_LL_MinMax_f8e5m2_0_0_2v.has_dyn_sized_stack, or(0, .L_ZN12_GLOBAL__N_17runRingI14__hip_fp8_e5m210FuncMinMaxIS1_E7ProtoLLLi0ELi2ELi0EEEviiP15ncclDevWorkColl.has_dyn_sized_stack)
	.set .L_Z53ncclDevFunc_ReduceScatter_RING_LL_MinMax_f8e5m2_0_0_2v.has_recursion, or(1, .L_ZN12_GLOBAL__N_17runRingI14__hip_fp8_e5m210FuncMinMaxIS1_E7ProtoLLLi0ELi2ELi0EEEviiP15ncclDevWorkColl.has_recursion)
	.set .L_Z53ncclDevFunc_ReduceScatter_RING_LL_MinMax_f8e5m2_0_0_2v.has_indirect_call, or(0, .L_ZN12_GLOBAL__N_17runRingI14__hip_fp8_e5m210FuncMinMaxIS1_E7ProtoLLLi0ELi2ELi0EEEviiP15ncclDevWorkColl.has_indirect_call)
	.section	.AMDGPU.csdata,"",@progbits
; Function info:
; codeLenInByte = 684
; TotalNumSgprs: 60
; NumVgprs: 120
; ScratchSize: 116
; MemoryBound: 0
	.text
	.p2align	2                               ; -- Begin function _ZN12_GLOBAL__N_17runRingI14__hip_fp8_e5m210FuncMinMaxIS1_E7ProtoLLLi0ELi4ELi0EEEviiP15ncclDevWorkColl
	.type	_ZN12_GLOBAL__N_17runRingI14__hip_fp8_e5m210FuncMinMaxIS1_E7ProtoLLLi0ELi4ELi0EEEviiP15ncclDevWorkColl,@function
_ZN12_GLOBAL__N_17runRingI14__hip_fp8_e5m210FuncMinMaxIS1_E7ProtoLLLi0ELi4ELi0EEEviiP15ncclDevWorkColl: ; @_ZN12_GLOBAL__N_17runRingI14__hip_fp8_e5m210FuncMinMaxIS1_E7ProtoLLLi0ELi4ELi0EEEviiP15ncclDevWorkColl
; %bb.0:
	s_wait_loadcnt_dscnt 0x0
	s_wait_kmcnt 0x0
	s_clause 0x17
	scratch_store_b32 off, v40, s32 offset:92
	; meta instruction
	scratch_store_b32 off, v41, s32 offset:88
	; meta instruction
	;; [unrolled: 2-line block ×23, first 2 shown]
	scratch_store_b32 off, v79, s32
	s_trap 2
	s_clause 0x2
	flat_load_b32 v12, v[2:3]
	flat_load_b128 v[4:7], v[2:3] offset:72
	flat_load_b64 v[68:69], v[2:3] offset:88
	v_mov_b32_e32 v20, v1
	ds_load_b32 v8, v0
	ds_load_b64 v[22:23], v0
	s_mov_b32 s0, exec_lo
                                        ; implicit-def: $vgpr54_vgpr55
                                        ; implicit-def: $vgpr24_vgpr25
	s_wait_dscnt 0x1
	v_readfirstlane_b32 s10, v8
	s_wait_loadcnt 0x2
	v_bfe_u32 v9, v12, 8, 8
	v_bitop3_b32 v1, v12, 0xff, v12 bitop3:0x3f
	s_delay_alu instid0(VALU_DEP_1) | instskip(NEXT) | instid1(VALU_DEP_1)
	v_add_nc_u32_e32 v10, v9, v1
	v_ashrrev_i32_e32 v11, 31, v10
	s_wait_loadcnt 0x1
	s_delay_alu instid0(VALU_DEP_1) | instskip(SKIP_2) | instid1(VALU_DEP_1)
	v_mul_u64_e32 v[18:19], v[6:7], v[10:11]
	v_and_b32_e32 v10, 0xff, v12
	s_wait_xcnt 0x0
	v_cmpx_ne_u32_e64 v8, v10
	s_xor_b32 s0, exec_lo, s0
	s_cbranch_execz .LBB4_6
; %bb.1:
	s_mov_b32 s1, exec_lo
                                        ; implicit-def: $vgpr54_vgpr55
                                        ; implicit-def: $vgpr24_vgpr25
	v_cmpx_ne_u32_e64 v8, v9
	s_xor_b32 s1, exec_lo, s1
	s_cbranch_execz .LBB4_3
; %bb.2:
	flat_load_b64 v[10:11], v[2:3] offset:96
	v_add_nc_u32_e32 v1, v8, v1
	s_delay_alu instid0(VALU_DEP_1) | instskip(NEXT) | instid1(VALU_DEP_1)
	v_mad_nc_u64_u32 v[24:25], v6, v1, v[4:5]
	v_mad_u32 v8, v7, v1, v25
	v_ashrrev_i32_e32 v1, 31, v1
	s_delay_alu instid0(VALU_DEP_1)
	v_mad_u32 v25, v6, v1, v8
	s_wait_loadcnt_dscnt 0x0
	v_lshrrev_b64 v[54:55], 17, v[10:11]
.LBB4_3:
	s_wait_xcnt 0x0
	s_and_not1_saveexec_b32 s1, s1
	s_cbranch_execz .LBB4_5
; %bb.4:
	flat_load_b32 v1, v[2:3] offset:100
	v_add_nc_u64_e32 v[24:25], v[18:19], v[4:5]
	s_wait_loadcnt 0x1
	v_mov_b64_e32 v[6:7], v[68:69]
	s_wait_loadcnt_dscnt 0x0
	v_lshrrev_b32_e32 v54, 6, v1
.LBB4_5:
	s_wait_xcnt 0x0
	s_or_b32 exec_lo, exec_lo, s1
.LBB4_6:
	s_and_not1_saveexec_b32 s0, s0
	s_cbranch_execz .LBB4_8
; %bb.7:
	flat_load_b64 v[6:7], v[2:3] offset:96
	v_mov_b64_e32 v[24:25], 0
	s_wait_loadcnt_dscnt 0x0
	v_lshlrev_b64_e32 v[54:55], 4, v[6:7]
	v_mov_b64_e32 v[6:7], v[4:5]
.LBB4_8:
	s_wait_xcnt 0x0
	s_or_b32 exec_lo, exec_lo, s0
	s_load_b32 s0, s[8:9], 0x0
	s_clause 0x2
	flat_load_b64 v[86:87], v[2:3] offset:104
	flat_load_u16 v13, v[2:3] offset:8
	flat_load_b32 v12, v[2:3] offset:4
	s_bfe_u32 s1, ttmp6, 0x4000c
	s_and_b32 s2, ttmp6, 15
	s_add_co_i32 s1, s1, 1
	s_getreg_b32 s3, hwreg(HW_REG_IB_STS2, 6, 4)
	s_mul_i32 s1, ttmp9, s1
	v_mov_b32_e32 v14, 0
	s_add_co_i32 s2, s2, s1
	s_cmp_eq_u32 s3, 0
	s_mov_b32 s1, 0
	s_cselect_b32 s2, ttmp9, s2
	v_mov_b64_e32 v[26:27], 0
	s_wait_kmcnt 0x0
	s_cmp_lt_u32 s2, s0
	s_cselect_b32 s0, 12, 18
	s_delay_alu instid0(SALU_CYCLE_1)
	s_add_nc_u64 s[2:3], s[8:9], s[0:1]
	flat_load_b128 v[8:11], v[2:3] offset:16
	global_load_u16 v1, v14, s[2:3]
	s_trap 2
	s_wait_xcnt 0x1
	ds_load_b32 v2, v0
	s_wait_dscnt 0x0
	v_cmp_gt_i32_e32 vcc_lo, 0, v2
	s_wait_xcnt 0x0
	v_readfirstlane_b32 s2, v2
	s_and_b32 vcc_lo, exec_lo, vcc_lo
	s_wait_loadcnt 0x2
	v_lshrrev_b64 v[14:15], 31, v[12:13]
	v_and_b32_e32 v12, 31, v0
	s_delay_alu instid0(VALU_DEP_1) | instskip(NEXT) | instid1(VALU_DEP_3)
	v_cmp_eq_u32_e64 s0, 0, v12
	v_and_b32_e32 v3, 3, v14
	s_delay_alu instid0(VALU_DEP_1)
	v_and_b32_e32 v13, 0xffff, v3
	s_cbranch_vccnz .LBB4_10
; %bb.9:
	s_trap 2
	ds_load_b64 v[14:15], v0
	s_mov_b32 s1, 1
	s_wait_dscnt 0x0
	v_readfirstlane_b32 s4, v14
	v_readfirstlane_b32 s5, v15
	flat_load_b64 v[2:3], v2, s[4:5] scale_offset
	s_wait_loadcnt_dscnt 0x0
	v_mad_nc_u64_u32 v[2:3], 0xa8, v13, v[2:3]
	s_clause 0x1
	flat_load_b64 v[32:33], v[2:3] offset:504
	flat_load_b64 v[34:35], v[2:3] offset:608
	v_add_nc_u64_e32 v[28:29], 0x1f8, v[2:3]
	s_wait_xcnt 0x0
	s_delay_alu instid0(VALU_DEP_1)
	v_dual_cndmask_b32 v3, 0, v29, s0 :: v_dual_cndmask_b32 v2, 0, v28, s0
	s_branch .LBB4_11
.LBB4_10:
	v_mov_b64_e32 v[28:29], 0
	v_mov_b64_e32 v[2:3], 0
                                        ; implicit-def: $vgpr34_vgpr35
                                        ; implicit-def: $vgpr32_vgpr33
.LBB4_11:
	s_trap 2
	ds_load_b32 v14, v0
	s_wait_dscnt 0x0
	v_cmp_gt_i32_e32 vcc_lo, 0, v14
	s_cbranch_vccnz .LBB4_13
; %bb.12:
	s_trap 2
	ds_load_b64 v[16:17], v0
	v_cmp_eq_u32_e32 vcc_lo, 0, v12
	s_wait_dscnt 0x0
	v_readfirstlane_b32 s4, v16
	v_readfirstlane_b32 s5, v17
	flat_load_b64 v[14:15], v14, s[4:5] scale_offset
	s_wait_loadcnt_dscnt 0x0
	v_mad_nc_u64_u32 v[26:27], 0xa8, v13, v[14:15]
	s_clause 0x1
	flat_load_b64 v[36:37], v[26:27]
	flat_load_b64 v[16:17], v[26:27] offset:104
	v_dual_cndmask_b32 v53, 0, v27 :: v_dual_cndmask_b32 v52, 0, v26
	s_branch .LBB4_14
.LBB4_13:
	v_mov_b64_e32 v[52:53], 0
                                        ; implicit-def: $vgpr16_vgpr17
                                        ; implicit-def: $vgpr36_vgpr37
.LBB4_14:
	s_wait_xcnt 0x2
	v_subrev_nc_u32_e32 v14, 32, v20
	v_cmp_gt_u32_e32 vcc_lo, s1, v12
	v_mov_b64_e32 v[12:13], 0
	v_mov_b64_e32 v[48:49], 0
                                        ; implicit-def: $vgpr38_vgpr39
	s_delay_alu instid0(VALU_DEP_4)
	v_cmp_ge_i32_e64 s0, v0, v14
	s_and_b32 s14, s0, vcc_lo
	s_wait_xcnt 0x0
	s_and_saveexec_b32 s0, s14
	s_cbranch_execz .LBB4_16
; %bb.15:
	s_clause 0x1
	flat_load_b64 v[48:49], v[2:3] offset:56
	flat_load_b64 v[38:39], v[2:3] offset:104
.LBB4_16:
	s_wait_xcnt 0x0
	s_or_b32 exec_lo, exec_lo, s0
	v_mov_b64_e32 v[50:51], 0
	v_cmp_gt_u32_e64 s0, s1, v0
                                        ; implicit-def: $vgpr64_vgpr65
	s_and_saveexec_b32 s1, s0
	s_cbranch_execz .LBB4_18
; %bb.17:
	flat_load_b64 v[50:51], v[52:53] offset:56
	s_wait_loadcnt_dscnt 0x0
	flat_load_b64 v[64:65], v[50:51] scope:SCOPE_SYS
	s_wait_loadcnt 0x0
	flat_load_b128 v[12:15], v[52:53] offset:96
.LBB4_18:
	s_wait_xcnt 0x0
	s_or_b32 exec_lo, exec_lo, s1
	v_mov_b64_e32 v[52:53], 0
	s_wait_loadcnt 0x0
	v_and_b32_e32 v56, 0xffff, v1
	s_mov_b32 s15, exec_lo
	v_cmpx_ne_u64_e32 0, v[6:7]
	s_cbranch_execnz .LBB4_34
; %bb.19:
	s_or_b32 exec_lo, exec_lo, s15
	s_and_saveexec_b32 s1, s14
	s_cbranch_execnz .LBB4_1248
.LBB4_20:
	s_or_b32 exec_lo, exec_lo, s1
	s_and_saveexec_b32 s1, s0
	s_cbranch_execz .LBB4_22
.LBB4_21:
	s_wait_dscnt 0x0
	flat_store_b64 v[26:27], v[14:15] offset:104
.LBB4_22:
	s_wait_xcnt 0x0
	s_or_b32 exec_lo, exec_lo, s1
	s_delay_alu instid0(SALU_CYCLE_1)
	s_mov_b32 s0, exec_lo
	v_cmpx_ne_u32_e32 32, v20
	s_cbranch_execz .LBB4_1255
; %bb.23:
	s_mov_b32 s1, exec_lo
	v_cmpx_ne_u32_e64 v20, v56
	s_xor_b32 s1, exec_lo, s1
	s_cbranch_execz .LBB4_1253
; %bb.24:
	v_and_b32_e32 v0, 31, v31
	s_mov_b32 s2, exec_lo
	s_delay_alu instid0(VALU_DEP_1)
	v_cmpx_eq_u32_e32 0, v0
	s_cbranch_execz .LBB4_1252
; %bb.25:
	s_mov_b32 s4, exec_lo
	s_mov_b32 s3, exec_lo
	v_mbcnt_lo_u32_b32 v0, s4, 0
	global_wb scope:SCOPE_DEV
	s_wait_storecnt 0x0
	s_wait_loadcnt_dscnt 0x0
	global_inv scope:SCOPE_DEV
	v_cmpx_eq_u32_e32 0, v0
	s_cbranch_execz .LBB4_27
; %bb.26:
	s_bcnt1_i32_b32 s4, s4
	s_delay_alu instid0(SALU_CYCLE_1)
	v_dual_mov_b32 v1, 0 :: v_dual_mov_b32 v0, s4
	s_wait_loadcnt 0x0
	ds_add_u64 v0, v[0:1]
	s_trap 2
.LBB4_27:
	s_or_b32 exec_lo, exec_lo, s3
	s_trap 2
	ds_load_b64 v[2:3], v0
	s_wait_dscnt 0x0
	v_dual_mov_b32 v1, 0 :: v_dual_lshrrev_b32 v0, 5, v20
	s_mov_b32 s3, exec_lo
	s_delay_alu instid0(VALU_DEP_1) | instskip(NEXT) | instid1(VALU_DEP_1)
	v_add_nc_u64_e32 v[0:1], v[52:53], v[0:1]
	v_cmpx_lt_u64_e64 v[2:3], v[0:1]
	s_cbranch_execz .LBB4_1251
; %bb.28:
	s_mov_b32 s4, 0
	s_mov_b32 s7, 0
                                        ; implicit-def: $sgpr5
                                        ; implicit-def: $sgpr6
	s_branch .LBB4_30
.LBB4_29:                               ;   in Loop: Header=BB4_30 Depth=1
	s_or_b32 exec_lo, exec_lo, s9
	s_delay_alu instid0(SALU_CYCLE_1) | instskip(NEXT) | instid1(SALU_CYCLE_1)
	s_and_b32 s8, exec_lo, s10
	s_or_b32 s4, s8, s4
	s_and_not1_b32 s5, s5, exec_lo
	s_and_b32 s8, s6, exec_lo
	s_delay_alu instid0(SALU_CYCLE_1)
	s_or_b32 s5, s5, s8
	s_and_not1_b32 exec_lo, exec_lo, s4
	s_cbranch_execz .LBB4_1249
.LBB4_30:                               ; =>This Inner Loop Header: Depth=1
	s_add_co_i32 s7, s7, 1
	s_delay_alu instid0(SALU_CYCLE_1) | instskip(SKIP_1) | instid1(SALU_CYCLE_1)
	s_cmp_lg_u32 s7, 0x2710
	s_cselect_b32 s8, -1, 0
	s_and_b32 vcc_lo, exec_lo, s8
	s_cbranch_vccz .LBB4_32
; %bb.31:                               ;   in Loop: Header=BB4_30 Depth=1
	s_mov_b32 s10, -1
	s_or_b32 s6, s6, exec_lo
	s_and_saveexec_b32 s9, s8
	s_cbranch_execz .LBB4_29
	s_branch .LBB4_33
.LBB4_32:                               ;   in Loop: Header=BB4_30 Depth=1
	s_trap 2
	ds_load_b64 v[2:3], v0
	s_and_not1_b32 s8, s8, exec_lo
	s_mov_b32 s7, 0
	s_wait_loadcnt_dscnt 0x0
	flat_load_b32 v2, v[2:3] scope:SCOPE_SYS
	s_wait_loadcnt_dscnt 0x0
	global_inv scope:SCOPE_SYS
	v_cmp_eq_u32_e32 vcc_lo, 0, v2
	s_and_b32 s9, vcc_lo, exec_lo
	s_delay_alu instid0(SALU_CYCLE_1)
	s_or_b32 s8, s8, s9
	s_mov_b32 s10, -1
	s_or_b32 s6, s6, exec_lo
	s_and_saveexec_b32 s9, s8
	s_cbranch_execz .LBB4_29
.LBB4_33:                               ;   in Loop: Header=BB4_30 Depth=1
	s_sleep 1
	s_trap 2
	ds_load_b64 v[2:3], v0
	s_wait_dscnt 0x0
	s_and_not1_b32 s6, s6, exec_lo
	v_cmp_ge_u64_e32 vcc_lo, v[2:3], v[0:1]
	s_or_not1_b32 s10, vcc_lo, exec_lo
	s_branch .LBB4_29
.LBB4_34:
	v_dual_mov_b32 v55, 0 :: v_dual_bitop2_b32 v1, 31, v31 bitop3:0x40
	v_add_nc_u64_e32 v[2:3], v[68:69], v[4:5]
	s_ashr_i32 s1, s2, 31
	s_ashr_i32 s11, s10, 31
	s_delay_alu instid0(VALU_DEP_2)
	v_mov_b32_e32 v85, v55
	v_cmp_eq_u32_e64 s5, 0, v1
	v_and_b32_e32 v1, 1, v86
	s_lshr_b32 s1, s1, 29
	v_add_nc_u64_e32 v[68:69], v[2:3], v[18:19]
	v_add_nc_u64_e32 v[2:3], v[24:25], v[10:11]
	v_dual_mov_b32 v83, v55 :: v_dual_lshlrev_b32 v84, 3, v0
	v_cmp_eq_u32_e64 s6, 1, v1
	v_dual_mov_b32 v1, v55 :: v_dual_mov_b32 v21, v55
	s_add_co_i32 s2, s2, s1
	v_mov_b64_e32 v[80:81], 0
	s_ashr_i32 s4, s2, 3
	s_ashr_i32 s16, s2, 7
	s_lshl_b64 s[2:3], s[10:11], 2
	v_cmp_ne_u64_e64 s1, 0, v[50:51]
	v_add_nc_u64_e32 v[70:71], s[2:3], v[22:23]
	s_wait_dscnt 0x0
	v_cmp_ne_u64_e64 s2, 0, v[12:13]
	v_add_nc_u64_e32 v[96:97], v[10:11], v[84:85]
	v_cmp_ne_u64_e64 s7, 0, v[48:49]
	v_add_nc_u64_e32 v[8:9], v[8:9], v[84:85]
	v_add_nc_u64_e32 v[98:99], v[2:3], v[84:85]
	v_lshlrev_b64_e32 v[102:103], 4, v[20:21]
	v_mov_b64_e32 v[52:53], 0
	v_and_b32_e32 v66, 0x1fffff0, v54
	v_dual_mov_b32 v67, v55 :: v_dual_lshrrev_b32 v82, 5, v20
	s_and_b32 s11, s4, -16
	v_cmp_ne_u32_e64 s3, 32, v20
	v_cmp_ne_u32_e64 s4, v20, v56
	v_dual_mov_b32 v87, v55 :: v_dual_lshlrev_b32 v86, 3, v20
	v_lshlrev_b32_e32 v57, 6, v20
	v_lshl_add_u64 v[100:101], v[0:1], 4, v[36:37]
	v_mov_b32_e32 v1, 1
	v_mov_b32_e32 v21, 0x7f800000
	v_dual_mov_b32 v58, 0x7c :: v_dual_mov_b32 v59, 0
	s_cmp_gt_i32 s10, 2
	s_mov_b64 s[12:13], 0xffffffffffffff
	s_mov_b32 s17, 0
	s_cselect_b32 s18, -1, 0
	s_branch .LBB4_36
.LBB4_35:                               ;   in Loop: Header=BB4_36 Depth=1
	s_wait_xcnt 0x0
	s_or_b32 exec_lo, exec_lo, s8
	v_add_nc_u64_e32 v[80:81], v[80:81], v[66:67]
	v_add_nc_u64_e32 v[34:35], 1, v[34:35]
	;; [unrolled: 1-line block ×3, first 2 shown]
	s_delay_alu instid0(VALU_DEP_3) | instskip(SKIP_1) | instid1(SALU_CYCLE_1)
	v_cmp_ge_u64_e32 vcc_lo, v[80:81], v[6:7]
	s_or_b32 s17, vcc_lo, s17
	s_and_not1_b32 exec_lo, exec_lo, s17
	s_cbranch_execz .LBB4_1247
.LBB4_36:                               ; =>This Loop Header: Depth=1
                                        ;     Child Loop BB4_41 Depth 2
                                        ;     Child Loop BB4_60 Depth 2
	;; [unrolled: 1-line block ×5, first 2 shown]
                                        ;       Child Loop BB4_90 Depth 3
                                        ;       Child Loop BB4_109 Depth 3
	;; [unrolled: 1-line block ×3, first 2 shown]
                                        ;         Child Loop BB4_138 Depth 4
                                        ;       Child Loop BB4_665 Depth 3
                                        ;       Child Loop BB4_126 Depth 3
                                        ;     Child Loop BB4_681 Depth 2
                                        ;       Child Loop BB4_689 Depth 3
                                        ;     Child Loop BB4_1235 Depth 2
	s_wait_loadcnt_dscnt 0x0
	flat_load_b32 v19, v[70:71] offset:-4
	v_sub_nc_u64_e32 v[2:3], v[6:7], v[80:81]
	s_delay_alu instid0(VALU_DEP_1) | instskip(NEXT) | instid1(VALU_DEP_1)
	v_min_u64 v[2:3], v[66:67], v[2:3]
	v_lshl_add_u32 v3, v2, 1, 14
	s_delay_alu instid0(VALU_DEP_1)
	v_and_b32_e32 v61, 0x7fffff0, v3
	s_wait_xcnt 0x0
	s_and_saveexec_b32 s9, s1
	s_cbranch_execz .LBB4_52
; %bb.37:                               ;   in Loop: Header=BB4_36 Depth=1
	v_add_nc_u64_e32 v[4:5], 1, v[14:15]
	v_add_nc_u64_e32 v[112:113], 8, v[64:65]
	s_mov_b32 s19, exec_lo
	s_delay_alu instid0(VALU_DEP_1)
	v_cmpx_lt_u64_e64 v[112:113], v[4:5]
	s_cbranch_execz .LBB4_49
; %bb.38:                               ;   in Loop: Header=BB4_36 Depth=1
	s_mov_b32 s20, 0
	s_mov_b32 s24, 0
	v_cmp_eq_u32_e32 vcc_lo, 0, v59
                                        ; implicit-def: $sgpr21
                                        ; implicit-def: $sgpr22
                                        ; implicit-def: $sgpr23
	s_branch .LBB4_41
.LBB4_39:                               ;   in Loop: Header=BB4_41 Depth=2
	s_or_b32 exec_lo, exec_lo, s29
	s_delay_alu instid0(SALU_CYCLE_1)
	s_and_not1_b32 s8, s23, exec_lo
	s_and_b32 s23, s27, exec_lo
	s_and_not1_b32 s22, s22, exec_lo
	s_and_b32 s26, s26, exec_lo
	s_or_b32 s23, s8, s23
	s_or_b32 s22, s22, s26
.LBB4_40:                               ;   in Loop: Header=BB4_41 Depth=2
	s_or_b32 exec_lo, exec_lo, s25
	s_delay_alu instid0(SALU_CYCLE_1) | instskip(NEXT) | instid1(SALU_CYCLE_1)
	s_and_b32 s8, exec_lo, s22
	s_or_b32 s20, s8, s20
	s_and_not1_b32 s8, s21, exec_lo
	s_and_b32 s21, s23, exec_lo
	s_delay_alu instid0(SALU_CYCLE_1)
	s_or_b32 s21, s8, s21
	s_and_not1_b32 exec_lo, exec_lo, s20
	s_cbranch_execz .LBB4_46
.LBB4_41:                               ;   Parent Loop BB4_36 Depth=1
                                        ; =>  This Inner Loop Header: Depth=2
	s_sleep 1
	s_wait_loadcnt_dscnt 0x0
	flat_load_b64 v[64:65], v[50:51] scope:SCOPE_DEV
	v_mov_b32_e32 v59, 1
	s_or_b32 s23, s23, exec_lo
	s_or_b32 s22, s22, exec_lo
                                        ; implicit-def: $vgpr3
	s_wait_xcnt 0x0
	s_and_saveexec_b32 s25, vcc_lo
	s_cbranch_execz .LBB4_40
; %bb.42:                               ;   in Loop: Header=BB4_41 Depth=2
	s_add_co_i32 s24, s24, 1
	s_mov_b32 s26, -1
	s_cmp_lg_u32 s24, 0x2710
	s_mov_b32 s27, -1
	s_cselect_b32 s28, -1, 0
	s_cmp_eq_u32 s24, 0x2710
                                        ; implicit-def: $vgpr3
	s_cbranch_scc1 .LBB4_44
; %bb.43:                               ;   in Loop: Header=BB4_41 Depth=2
	v_mov_b32_e32 v59, 1
	s_and_saveexec_b32 s29, s28
	s_cbranch_execz .LBB4_39
	s_branch .LBB4_45
.LBB4_44:                               ;   in Loop: Header=BB4_41 Depth=2
	s_trap 2
	ds_load_b64 v[112:113], v0
	s_and_not1_b32 s24, s28, exec_lo
	s_mov_b32 s27, 0
	s_wait_storecnt 0x0
	s_wait_loadcnt_dscnt 0x0
	flat_load_b32 v3, v[112:113] scope:SCOPE_SYS
	s_wait_loadcnt_dscnt 0x0
	global_inv scope:SCOPE_SYS
	v_cmp_eq_u32_e64 s8, 0, v3
	s_and_b32 s8, s8, exec_lo
	s_delay_alu instid0(SALU_CYCLE_1)
	s_or_b32 s28, s24, s8
	s_mov_b32 s24, 0
	v_mov_b32_e32 v59, 1
	s_and_saveexec_b32 s29, s28
	s_cbranch_execz .LBB4_39
.LBB4_45:                               ;   in Loop: Header=BB4_41 Depth=2
	s_wait_loadcnt_dscnt 0x0
	v_add_nc_u64_e32 v[112:113], 8, v[64:65]
	v_mov_b32_e32 v59, 0
	s_or_b32 s27, s27, exec_lo
	s_delay_alu instid0(VALU_DEP_2)
	v_cmp_ge_u64_e64 s8, v[112:113], v[4:5]
	s_or_not1_b32 s26, s8, exec_lo
	s_branch .LBB4_39
.LBB4_46:                               ;   in Loop: Header=BB4_36 Depth=1
	s_or_b32 exec_lo, exec_lo, s20
	s_xor_b32 s8, s21, -1
	s_delay_alu instid0(SALU_CYCLE_1) | instskip(NEXT) | instid1(SALU_CYCLE_1)
	s_and_saveexec_b32 s20, s8
	s_xor_b32 s8, exec_lo, s20
	s_cbranch_execz .LBB4_48
; %bb.47:                               ;   in Loop: Header=BB4_36 Depth=1
	v_mov_b32_e32 v59, 1
	s_wait_storecnt 0x0
	s_wait_loadcnt_dscnt 0x0
	ds_store_b32 v0, v3
	s_trap 2
.LBB4_48:                               ;   in Loop: Header=BB4_36 Depth=1
	s_or_b32 exec_lo, exec_lo, s8
.LBB4_49:                               ;   in Loop: Header=BB4_36 Depth=1
	s_delay_alu instid0(SALU_CYCLE_1)
	s_or_b32 exec_lo, exec_lo, s19
	s_and_saveexec_b32 s8, s2
	s_cbranch_execz .LBB4_51
; %bb.50:                               ;   in Loop: Header=BB4_36 Depth=1
	v_and_b32_e32 v54, 0x7ffffff8, v14
	s_delay_alu instid0(VALU_DEP_1) | instskip(SKIP_1) | instid1(VALU_DEP_1)
	v_cmp_eq_u64_e32 vcc_lo, 0x7ffffff8, v[54:55]
	v_cndmask_b32_e64 v112, v61, s11, vcc_lo
	v_dual_ashrrev_i32 v113, 31, v112 :: v_dual_bitop2_b32 v3, 7, v14 bitop3:0x40
	s_delay_alu instid0(VALU_DEP_1)
	v_mad_nc_u64_u32 v[14:15], v3, 24, v[12:13]
	flat_store_b64 v[14:15], v[112:113] offset:8 scope:SCOPE_SYS
	s_wait_storecnt 0x0
.LBB4_51:                               ;   in Loop: Header=BB4_36 Depth=1
	s_wait_xcnt 0x0
	s_or_b32 exec_lo, exec_lo, s8
	v_mov_b64_e32 v[14:15], v[4:5]
.LBB4_52:                               ;   in Loop: Header=BB4_36 Depth=1
	s_or_b32 exec_lo, exec_lo, s9
	s_and_saveexec_b32 s8, s3
	s_cbranch_execz .LBB4_71
; %bb.53:                               ;   in Loop: Header=BB4_36 Depth=1
	s_and_saveexec_b32 s9, s4
	s_delay_alu instid0(SALU_CYCLE_1)
	s_xor_b32 s9, exec_lo, s9
	s_cbranch_execz .LBB4_68
; %bb.54:                               ;   in Loop: Header=BB4_36 Depth=1
	s_and_saveexec_b32 s19, s5
	s_cbranch_execz .LBB4_67
; %bb.55:                               ;   in Loop: Header=BB4_36 Depth=1
	s_mov_b32 s21, exec_lo
	s_mov_b32 s20, exec_lo
	v_mbcnt_lo_u32_b32 v3, s21, 0
	global_wb scope:SCOPE_DEV
	s_wait_storecnt 0x0
	s_wait_loadcnt_dscnt 0x0
	global_inv scope:SCOPE_DEV
	v_cmpx_eq_u32_e32 0, v3
	s_cbranch_execz .LBB4_57
; %bb.56:                               ;   in Loop: Header=BB4_36 Depth=1
	s_bcnt1_i32_b32 s21, s21
	s_delay_alu instid0(SALU_CYCLE_1)
	v_mov_b32_e32 v54, s21
	s_wait_loadcnt 0x0
	ds_add_u64 v0, v[54:55]
	s_trap 2
.LBB4_57:                               ;   in Loop: Header=BB4_36 Depth=1
	s_or_b32 exec_lo, exec_lo, s20
	s_trap 2
	ds_load_b64 v[4:5], v0
	s_wait_dscnt 0x0
	v_add_nc_u64_e32 v[52:53], v[52:53], v[82:83]
	s_mov_b32 s20, exec_lo
	s_delay_alu instid0(VALU_DEP_1)
	v_cmpx_lt_u64_e64 v[4:5], v[52:53]
	s_cbranch_execz .LBB4_66
; %bb.58:                               ;   in Loop: Header=BB4_36 Depth=1
	s_mov_b32 s21, 0
	s_mov_b32 s24, 0
                                        ; implicit-def: $sgpr22
                                        ; implicit-def: $sgpr23
	s_branch .LBB4_60
.LBB4_59:                               ;   in Loop: Header=BB4_60 Depth=2
	s_or_b32 exec_lo, exec_lo, s26
	s_delay_alu instid0(SALU_CYCLE_1) | instskip(NEXT) | instid1(SALU_CYCLE_1)
	s_and_b32 s25, exec_lo, s27
	s_or_b32 s21, s25, s21
	s_and_not1_b32 s22, s22, exec_lo
	s_and_b32 s25, s23, exec_lo
	s_delay_alu instid0(SALU_CYCLE_1)
	s_or_b32 s22, s22, s25
	s_and_not1_b32 exec_lo, exec_lo, s21
	s_cbranch_execz .LBB4_64
.LBB4_60:                               ;   Parent Loop BB4_36 Depth=1
                                        ; =>  This Inner Loop Header: Depth=2
	s_add_co_i32 s24, s24, 1
	s_delay_alu instid0(SALU_CYCLE_1) | instskip(SKIP_1) | instid1(SALU_CYCLE_1)
	s_cmp_lg_u32 s24, 0x2710
	s_cselect_b32 s25, -1, 0
	s_and_b32 vcc_lo, exec_lo, s25
	s_cbranch_vccz .LBB4_62
; %bb.61:                               ;   in Loop: Header=BB4_60 Depth=2
	s_mov_b32 s27, -1
	s_or_b32 s23, s23, exec_lo
	s_and_saveexec_b32 s26, s25
	s_cbranch_execz .LBB4_59
	s_branch .LBB4_63
.LBB4_62:                               ;   in Loop: Header=BB4_60 Depth=2
	s_trap 2
	ds_load_b64 v[4:5], v0
	s_and_not1_b32 s25, s25, exec_lo
	s_mov_b32 s24, 0
	s_wait_loadcnt_dscnt 0x0
	flat_load_b32 v3, v[4:5] scope:SCOPE_SYS
	s_wait_loadcnt_dscnt 0x0
	global_inv scope:SCOPE_SYS
	v_cmp_eq_u32_e32 vcc_lo, 0, v3
	s_and_b32 s26, vcc_lo, exec_lo
	s_delay_alu instid0(SALU_CYCLE_1)
	s_or_b32 s25, s25, s26
	s_mov_b32 s27, -1
	s_or_b32 s23, s23, exec_lo
	s_and_saveexec_b32 s26, s25
	s_cbranch_execz .LBB4_59
.LBB4_63:                               ;   in Loop: Header=BB4_60 Depth=2
	s_sleep 1
	s_trap 2
	ds_load_b64 v[4:5], v0
	s_wait_dscnt 0x0
	s_and_not1_b32 s23, s23, exec_lo
	v_cmp_ge_u64_e32 vcc_lo, v[4:5], v[52:53]
	s_or_not1_b32 s27, vcc_lo, exec_lo
	s_branch .LBB4_59
.LBB4_64:                               ;   in Loop: Header=BB4_36 Depth=1
	s_or_b32 exec_lo, exec_lo, s21
	s_and_saveexec_b32 s21, s22
	s_delay_alu instid0(SALU_CYCLE_1)
	s_xor_b32 s21, exec_lo, s21
	s_cbranch_execz .LBB4_66
; %bb.65:                               ;   in Loop: Header=BB4_36 Depth=1
	ds_store_b32 v0, v1
	s_trap 2
.LBB4_66:                               ;   in Loop: Header=BB4_36 Depth=1
	s_or_b32 exec_lo, exec_lo, s20
	;;#ASMSTART
	s_wakeup
	;;#ASMEND
.LBB4_67:                               ;   in Loop: Header=BB4_36 Depth=1
	s_or_b32 exec_lo, exec_lo, s19
.LBB4_68:                               ;   in Loop: Header=BB4_36 Depth=1
	s_and_not1_saveexec_b32 s9, s9
	s_cbranch_execz .LBB4_70
; %bb.69:                               ;   in Loop: Header=BB4_36 Depth=1
	global_wb scope:SCOPE_DEV
	s_wait_storecnt 0x0
	s_wait_loadcnt_dscnt 0x0
	global_inv scope:SCOPE_DEV
	s_barrier_signal -1
	s_barrier_wait -1
.LBB4_70:                               ;   in Loop: Header=BB4_36 Depth=1
	s_or_b32 exec_lo, exec_lo, s9
.LBB4_71:                               ;   in Loop: Header=BB4_36 Depth=1
	s_delay_alu instid0(SALU_CYCLE_1) | instskip(SKIP_2) | instid1(VALU_DEP_2)
	s_or_b32 exec_lo, exec_lo, s8
	v_dual_sub_nc_u32 v60, v2, v84 :: v_dual_mov_b32 v18, v0
	v_dual_add_nc_u32 v3, 1, v16 :: v_dual_bitop2_b32 v30, 7, v16 bitop3:0x40
	v_cmp_lt_i32_e64 s8, 0, v60
	s_and_saveexec_b32 s9, s8
	s_cbranch_execz .LBB4_79
; %bb.72:                               ;   in Loop: Header=BB4_36 Depth=1
	s_wait_loadcnt_dscnt 0x0
	v_mad_nc_u64_u32 v[112:113], v68, v19, v[98:99]
	v_mul_lo_u32 v4, v30, s16
	v_mul_lo_u32 v18, v68, v19
	v_mov_b32_e32 v116, v60
	s_mov_b32 s19, 0
	s_delay_alu instid0(VALU_DEP_4) | instskip(NEXT) | instid1(VALU_DEP_4)
	v_mad_u32 v2, v69, v19, v113
	v_dual_ashrrev_i32 v19, 31, v19 :: v_dual_ashrrev_i32 v5, 31, v4
	s_delay_alu instid0(VALU_DEP_1) | instskip(NEXT) | instid1(VALU_DEP_2)
	v_lshl_add_u64 v[114:115], v[4:5], 4, v[100:101]
	v_mad_u32 v113, v68, v19, v2
	v_add_lshl_u32 v19, v98, v18, 3
	v_mov_b32_e32 v18, v0
	s_branch .LBB4_74
.LBB4_73:                               ;   in Loop: Header=BB4_74 Depth=2
	s_wait_xcnt 0x0
	s_or_b32 exec_lo, exec_lo, s20
	s_wait_loadcnt 0x0
	v_alignbit_b32 v2, v118, v2, v19
	v_alignbit_b32 v4, v117, v118, v19
	v_dual_mov_b32 v5, v3 :: v_dual_sub_nc_u32 v116, v116, v86
	v_add_nc_u64_e32 v[112:113], v[112:113], v[86:87]
	v_dual_add_nc_u32 v18, v18, v20 :: v_dual_add_nc_u32 v19, v19, v57
	global_store_b128 v[114:115], v[2:5], off
	v_cmp_gt_i32_e32 vcc_lo, 1, v116
	s_wait_xcnt 0x0
	v_add_nc_u64_e32 v[114:115], v[114:115], v[102:103]
	s_or_b32 s19, vcc_lo, s19
	s_delay_alu instid0(SALU_CYCLE_1)
	s_and_not1_b32 exec_lo, exec_lo, s19
	s_cbranch_execz .LBB4_78
.LBB4_74:                               ;   Parent Loop BB4_36 Depth=1
                                        ; =>  This Inner Loop Header: Depth=2
	s_delay_alu instid0(VALU_DEP_3)
	v_dual_mov_b32 v5, v113 :: v_dual_bitop2_b32 v4, -4, v112 bitop3:0x40
	v_min_u32_e32 v54, 8, v116
	v_dual_mov_b32 v118, 0 :: v_dual_bitop2_b32 v117, 3, v112 bitop3:0x40
	s_mov_b32 s20, exec_lo
	global_load_b32 v2, v[4:5], off th:TH_LOAD_NT
	v_dual_mov_b32 v117, 0 :: v_dual_add_nc_u32 v54, v117, v54
	s_wait_xcnt 0x0
	s_delay_alu instid0(VALU_DEP_1)
	v_cmpx_lt_u32_e32 4, v54
	s_cbranch_execz .LBB4_76
; %bb.75:                               ;   in Loop: Header=BB4_74 Depth=2
	global_load_b32 v118, v[4:5], off offset:4 th:TH_LOAD_NT
.LBB4_76:                               ;   in Loop: Header=BB4_74 Depth=2
	s_wait_xcnt 0x0
	s_or_b32 exec_lo, exec_lo, s20
	s_delay_alu instid0(SALU_CYCLE_1)
	s_mov_b32 s20, exec_lo
	v_cmpx_lt_u64_e32 8, v[54:55]
	s_cbranch_execz .LBB4_73
; %bb.77:                               ;   in Loop: Header=BB4_74 Depth=2
	global_load_b32 v117, v[4:5], off offset:8 th:TH_LOAD_NT
	s_branch .LBB4_73
.LBB4_78:                               ;   in Loop: Header=BB4_36 Depth=1
	s_or_b32 exec_lo, exec_lo, s19
.LBB4_79:                               ;   in Loop: Header=BB4_36 Depth=1
	s_delay_alu instid0(SALU_CYCLE_1) | instskip(SKIP_2) | instid1(VALU_DEP_2)
	s_or_b32 exec_lo, exec_lo, s9
	v_and_b32_e32 v54, 0x7ffffff8, v16
	v_cmp_gt_i32_e64 s9, s16, v18
	v_cmp_eq_u64_e32 vcc_lo, 0x7ffffff8, v[54:55]
	s_and_b32 s19, vcc_lo, s9
	s_delay_alu instid0(SALU_CYCLE_1)
	s_and_saveexec_b32 s9, s19
	s_cbranch_execz .LBB4_82
; %bb.80:                               ;   in Loop: Header=BB4_36 Depth=1
	v_mul_lo_u32 v4, v30, s16
	v_mov_b32_e32 v2, v55
	s_mov_b32 s19, 0
	s_wait_loadcnt_dscnt 0x0
	s_delay_alu instid0(VALU_DEP_2) | instskip(NEXT) | instid1(VALU_DEP_1)
	v_dual_ashrrev_i32 v19, 31, v18 :: v_dual_ashrrev_i32 v5, 31, v4
	v_lshlrev_b64_e32 v[4:5], 4, v[4:5]
	s_delay_alu instid0(VALU_DEP_1) | instskip(NEXT) | instid1(VALU_DEP_1)
	v_lshl_add_u64 v[4:5], v[18:19], 4, v[4:5]
	v_add_nc_u64_e32 v[112:113], v[36:37], v[4:5]
.LBB4_81:                               ;   Parent Loop BB4_36 Depth=1
                                        ; =>  This Inner Loop Header: Depth=2
	v_dual_mov_b32 v4, v2 :: v_dual_mov_b32 v5, v3
	v_add_nc_u32_e32 v18, v18, v20
	global_store_b128 v[112:113], v[2:5], off
	v_cmp_le_i32_e32 vcc_lo, s16, v18
	s_wait_xcnt 0x0
	v_add_nc_u64_e32 v[112:113], v[112:113], v[102:103]
	s_or_b32 s19, vcc_lo, s19
	s_delay_alu instid0(SALU_CYCLE_1)
	s_and_not1_b32 exec_lo, exec_lo, s19
	s_cbranch_execnz .LBB4_81
.LBB4_82:                               ;   in Loop: Header=BB4_36 Depth=1
	s_or_b32 exec_lo, exec_lo, s9
	v_add_nc_u64_e32 v[112:113], v[80:81], v[24:25]
	v_add_nc_u64_e32 v[114:115], 1, v[16:17]
	s_and_not1_b32 vcc_lo, exec_lo, s18
	s_cbranch_vccnz .LBB4_676
; %bb.83:                               ;   in Loop: Header=BB4_36 Depth=1
	s_delay_alu instid0(VALU_DEP_2)
	v_add_nc_u64_e32 v[116:117], v[96:97], v[112:113]
	v_add_nc_u16 v62, v16, 1
	s_mov_b32 s19, 2
	s_branch .LBB4_85
.LBB4_84:                               ;   in Loop: Header=BB4_85 Depth=2
	s_or_b32 exec_lo, exec_lo, s9
	v_add_nc_u64_e32 v[34:35], 1, v[34:35]
	v_add_nc_u64_e32 v[114:115], 1, v[114:115]
	v_add_nc_u16 v62, v62, 1
	s_add_co_i32 s19, s19, 1
	s_delay_alu instid0(SALU_CYCLE_1)
	s_cmp_eq_u32 s19, s10
	s_cbranch_scc1 .LBB4_676
.LBB4_85:                               ;   Parent Loop BB4_36 Depth=1
                                        ; =>  This Loop Header: Depth=2
                                        ;       Child Loop BB4_90 Depth 3
                                        ;       Child Loop BB4_109 Depth 3
                                        ;       Child Loop BB4_130 Depth 3
                                        ;         Child Loop BB4_138 Depth 4
                                        ;       Child Loop BB4_665 Depth 3
                                        ;       Child Loop BB4_126 Depth 3
	s_sub_co_i32 s9, s10, s19
	v_readfirstlane_b32 s20, v22
	v_mov_b32_e32 v2, s9
	v_readfirstlane_b32 s21, v23
	flat_load_b32 v4, v2, s[20:21] scale_offset
	s_wait_xcnt 0x0
	s_and_saveexec_b32 s20, s1
	s_cbranch_execz .LBB4_101
; %bb.86:                               ;   in Loop: Header=BB4_85 Depth=2
	v_add_nc_u64_e32 v[2:3], 1, v[14:15]
	s_wait_loadcnt_dscnt 0x101
	v_add_nc_u64_e32 v[16:17], 8, v[64:65]
	s_mov_b32 s21, exec_lo
	s_delay_alu instid0(VALU_DEP_1)
	v_cmpx_lt_u64_e64 v[16:17], v[2:3]
	s_cbranch_execz .LBB4_98
; %bb.87:                               ;   in Loop: Header=BB4_85 Depth=2
	s_mov_b32 s22, 0
	s_mov_b32 s26, 0
	v_cmp_eq_u32_e32 vcc_lo, 0, v59
                                        ; implicit-def: $sgpr23
                                        ; implicit-def: $sgpr24
                                        ; implicit-def: $sgpr25
	s_branch .LBB4_90
.LBB4_88:                               ;   in Loop: Header=BB4_90 Depth=3
	s_or_b32 exec_lo, exec_lo, s41
	s_delay_alu instid0(SALU_CYCLE_1)
	s_and_not1_b32 s9, s25, exec_lo
	s_and_b32 s25, s29, exec_lo
	s_and_not1_b32 s24, s24, exec_lo
	s_and_b32 s28, s28, exec_lo
	s_or_b32 s25, s9, s25
	s_or_b32 s24, s24, s28
.LBB4_89:                               ;   in Loop: Header=BB4_90 Depth=3
	s_or_b32 exec_lo, exec_lo, s27
	s_delay_alu instid0(SALU_CYCLE_1) | instskip(NEXT) | instid1(SALU_CYCLE_1)
	s_and_b32 s9, exec_lo, s24
	s_or_b32 s22, s9, s22
	s_and_not1_b32 s9, s23, exec_lo
	s_and_b32 s23, s25, exec_lo
	s_delay_alu instid0(SALU_CYCLE_1)
	s_or_b32 s23, s9, s23
	s_and_not1_b32 exec_lo, exec_lo, s22
	s_cbranch_execz .LBB4_95
.LBB4_90:                               ;   Parent Loop BB4_36 Depth=1
                                        ;     Parent Loop BB4_85 Depth=2
                                        ; =>    This Inner Loop Header: Depth=3
	s_sleep 1
	s_wait_loadcnt_dscnt 0x0
	flat_load_b64 v[64:65], v[50:51] scope:SCOPE_DEV
	v_mov_b32_e32 v59, 1
	s_or_b32 s25, s25, exec_lo
	s_or_b32 s24, s24, exec_lo
                                        ; implicit-def: $vgpr5
	s_wait_xcnt 0x0
	s_and_saveexec_b32 s27, vcc_lo
	s_cbranch_execz .LBB4_89
; %bb.91:                               ;   in Loop: Header=BB4_90 Depth=3
	s_add_co_i32 s26, s26, 1
	s_mov_b32 s28, -1
	s_cmp_lg_u32 s26, 0x2710
	s_mov_b32 s29, -1
	s_cselect_b32 s40, -1, 0
	s_cmp_eq_u32 s26, 0x2710
                                        ; implicit-def: $vgpr5
	s_cbranch_scc1 .LBB4_93
; %bb.92:                               ;   in Loop: Header=BB4_90 Depth=3
	v_mov_b32_e32 v59, 1
	s_and_saveexec_b32 s41, s40
	s_cbranch_execz .LBB4_88
	s_branch .LBB4_94
.LBB4_93:                               ;   in Loop: Header=BB4_90 Depth=3
	s_trap 2
	ds_load_b64 v[16:17], v0
	s_and_not1_b32 s26, s40, exec_lo
	s_mov_b32 s29, 0
	s_wait_storecnt 0x0
	s_wait_loadcnt_dscnt 0x0
	flat_load_b32 v5, v[16:17] scope:SCOPE_SYS
	s_wait_loadcnt_dscnt 0x0
	global_inv scope:SCOPE_SYS
	v_cmp_eq_u32_e64 s9, 0, v5
	s_and_b32 s9, s9, exec_lo
	s_delay_alu instid0(SALU_CYCLE_1)
	s_or_b32 s40, s26, s9
	s_mov_b32 s26, 0
	v_mov_b32_e32 v59, 1
	s_and_saveexec_b32 s41, s40
	s_cbranch_execz .LBB4_88
.LBB4_94:                               ;   in Loop: Header=BB4_90 Depth=3
	s_wait_loadcnt_dscnt 0x0
	v_add_nc_u64_e32 v[16:17], 8, v[64:65]
	v_mov_b32_e32 v59, 0
	s_or_b32 s29, s29, exec_lo
	s_delay_alu instid0(VALU_DEP_2)
	v_cmp_ge_u64_e64 s9, v[16:17], v[2:3]
	s_or_not1_b32 s28, s9, exec_lo
	s_branch .LBB4_88
.LBB4_95:                               ;   in Loop: Header=BB4_85 Depth=2
	s_or_b32 exec_lo, exec_lo, s22
	s_xor_b32 s9, s23, -1
	s_delay_alu instid0(SALU_CYCLE_1) | instskip(NEXT) | instid1(SALU_CYCLE_1)
	s_and_saveexec_b32 s22, s9
	s_xor_b32 s9, exec_lo, s22
	s_cbranch_execz .LBB4_97
; %bb.96:                               ;   in Loop: Header=BB4_85 Depth=2
	v_mov_b32_e32 v59, 1
	s_wait_storecnt 0x0
	s_wait_loadcnt_dscnt 0x0
	ds_store_b32 v0, v5
	s_trap 2
.LBB4_97:                               ;   in Loop: Header=BB4_85 Depth=2
	s_or_b32 exec_lo, exec_lo, s9
.LBB4_98:                               ;   in Loop: Header=BB4_85 Depth=2
	s_delay_alu instid0(SALU_CYCLE_1)
	s_or_b32 exec_lo, exec_lo, s21
	s_and_saveexec_b32 s9, s2
	s_cbranch_execz .LBB4_100
; %bb.99:                               ;   in Loop: Header=BB4_85 Depth=2
	v_and_b32_e32 v54, 0x7ffffff8, v14
	s_delay_alu instid0(VALU_DEP_1) | instskip(SKIP_1) | instid1(VALU_DEP_1)
	v_cmp_eq_u64_e32 vcc_lo, 0x7ffffff8, v[54:55]
	v_cndmask_b32_e64 v16, v61, s11, vcc_lo
	v_dual_ashrrev_i32 v17, 31, v16 :: v_dual_bitop2_b32 v5, 7, v14 bitop3:0x40
	s_delay_alu instid0(VALU_DEP_1)
	v_mad_nc_u64_u32 v[14:15], v5, 24, v[12:13]
	flat_store_b64 v[14:15], v[16:17] offset:8 scope:SCOPE_SYS
	s_wait_storecnt 0x0
.LBB4_100:                              ;   in Loop: Header=BB4_85 Depth=2
	s_wait_xcnt 0x0
	s_or_b32 exec_lo, exec_lo, s9
	v_mov_b64_e32 v[14:15], v[2:3]
.LBB4_101:                              ;   in Loop: Header=BB4_85 Depth=2
	s_or_b32 exec_lo, exec_lo, s20
	s_and_saveexec_b32 s9, s3
	s_cbranch_execz .LBB4_120
; %bb.102:                              ;   in Loop: Header=BB4_85 Depth=2
	s_and_saveexec_b32 s20, s4
	s_delay_alu instid0(SALU_CYCLE_1)
	s_xor_b32 s20, exec_lo, s20
	s_cbranch_execz .LBB4_117
; %bb.103:                              ;   in Loop: Header=BB4_85 Depth=2
	s_and_saveexec_b32 s21, s5
	s_cbranch_execz .LBB4_116
; %bb.104:                              ;   in Loop: Header=BB4_85 Depth=2
	s_mov_b32 s23, exec_lo
	s_mov_b32 s22, exec_lo
	v_mbcnt_lo_u32_b32 v2, s23, 0
	global_wb scope:SCOPE_DEV
	s_wait_storecnt 0x0
	s_wait_loadcnt_dscnt 0x0
	global_inv scope:SCOPE_DEV
	v_cmpx_eq_u32_e32 0, v2
	s_cbranch_execz .LBB4_106
; %bb.105:                              ;   in Loop: Header=BB4_85 Depth=2
	s_bcnt1_i32_b32 s23, s23
	s_delay_alu instid0(SALU_CYCLE_1)
	v_mov_b32_e32 v54, s23
	s_wait_loadcnt 0x0
	ds_add_u64 v0, v[54:55]
	s_trap 2
.LBB4_106:                              ;   in Loop: Header=BB4_85 Depth=2
	s_or_b32 exec_lo, exec_lo, s22
	s_trap 2
	ds_load_b64 v[2:3], v0
	s_wait_dscnt 0x0
	v_add_nc_u64_e32 v[52:53], v[52:53], v[82:83]
	s_mov_b32 s22, exec_lo
	s_delay_alu instid0(VALU_DEP_1)
	v_cmpx_lt_u64_e64 v[2:3], v[52:53]
	s_cbranch_execz .LBB4_115
; %bb.107:                              ;   in Loop: Header=BB4_85 Depth=2
	s_mov_b32 s23, 0
	s_mov_b32 s26, 0
                                        ; implicit-def: $sgpr24
                                        ; implicit-def: $sgpr25
	s_branch .LBB4_109
.LBB4_108:                              ;   in Loop: Header=BB4_109 Depth=3
	s_or_b32 exec_lo, exec_lo, s28
	s_delay_alu instid0(SALU_CYCLE_1) | instskip(NEXT) | instid1(SALU_CYCLE_1)
	s_and_b32 s27, exec_lo, s29
	s_or_b32 s23, s27, s23
	s_and_not1_b32 s24, s24, exec_lo
	s_and_b32 s27, s25, exec_lo
	s_delay_alu instid0(SALU_CYCLE_1)
	s_or_b32 s24, s24, s27
	s_and_not1_b32 exec_lo, exec_lo, s23
	s_cbranch_execz .LBB4_113
.LBB4_109:                              ;   Parent Loop BB4_36 Depth=1
                                        ;     Parent Loop BB4_85 Depth=2
                                        ; =>    This Inner Loop Header: Depth=3
	s_add_co_i32 s26, s26, 1
	s_delay_alu instid0(SALU_CYCLE_1) | instskip(SKIP_1) | instid1(SALU_CYCLE_1)
	s_cmp_lg_u32 s26, 0x2710
	s_cselect_b32 s27, -1, 0
	s_and_b32 vcc_lo, exec_lo, s27
	s_cbranch_vccz .LBB4_111
; %bb.110:                              ;   in Loop: Header=BB4_109 Depth=3
	s_mov_b32 s29, -1
	s_or_b32 s25, s25, exec_lo
	s_and_saveexec_b32 s28, s27
	s_cbranch_execz .LBB4_108
	s_branch .LBB4_112
.LBB4_111:                              ;   in Loop: Header=BB4_109 Depth=3
	s_trap 2
	ds_load_b64 v[2:3], v0
	s_and_not1_b32 s27, s27, exec_lo
	s_mov_b32 s26, 0
	s_wait_loadcnt_dscnt 0x0
	flat_load_b32 v2, v[2:3] scope:SCOPE_SYS
	s_wait_loadcnt_dscnt 0x0
	global_inv scope:SCOPE_SYS
	v_cmp_eq_u32_e32 vcc_lo, 0, v2
	s_and_b32 s28, vcc_lo, exec_lo
	s_delay_alu instid0(SALU_CYCLE_1)
	s_or_b32 s27, s27, s28
	s_mov_b32 s29, -1
	s_or_b32 s25, s25, exec_lo
	s_and_saveexec_b32 s28, s27
	s_cbranch_execz .LBB4_108
.LBB4_112:                              ;   in Loop: Header=BB4_109 Depth=3
	s_sleep 1
	s_trap 2
	ds_load_b64 v[2:3], v0
	s_wait_dscnt 0x0
	s_and_not1_b32 s25, s25, exec_lo
	v_cmp_ge_u64_e32 vcc_lo, v[2:3], v[52:53]
	s_or_not1_b32 s29, vcc_lo, exec_lo
	s_branch .LBB4_108
.LBB4_113:                              ;   in Loop: Header=BB4_85 Depth=2
	s_or_b32 exec_lo, exec_lo, s23
	s_and_saveexec_b32 s23, s24
	s_delay_alu instid0(SALU_CYCLE_1)
	s_xor_b32 s23, exec_lo, s23
	s_cbranch_execz .LBB4_115
; %bb.114:                              ;   in Loop: Header=BB4_85 Depth=2
	ds_store_b32 v0, v1
	s_trap 2
.LBB4_115:                              ;   in Loop: Header=BB4_85 Depth=2
	s_or_b32 exec_lo, exec_lo, s22
	;;#ASMSTART
	s_wakeup
	;;#ASMEND
.LBB4_116:                              ;   in Loop: Header=BB4_85 Depth=2
	s_or_b32 exec_lo, exec_lo, s21
.LBB4_117:                              ;   in Loop: Header=BB4_85 Depth=2
	s_and_not1_saveexec_b32 s20, s20
	s_cbranch_execz .LBB4_119
; %bb.118:                              ;   in Loop: Header=BB4_85 Depth=2
	global_wb scope:SCOPE_DEV
	s_wait_storecnt 0x0
	s_wait_loadcnt_dscnt 0x0
	global_inv scope:SCOPE_DEV
	s_barrier_signal -1
	s_barrier_wait -1
.LBB4_119:                              ;   in Loop: Header=BB4_85 Depth=2
	s_or_b32 exec_lo, exec_lo, s20
.LBB4_120:                              ;   in Loop: Header=BB4_85 Depth=2
	s_delay_alu instid0(SALU_CYCLE_1)
	s_or_b32 exec_lo, exec_lo, s9
	v_dual_mov_b32 v54, v0 :: v_dual_add_nc_u32 v3, 1, v114
	s_and_saveexec_b32 s20, s8
	s_cbranch_execnz .LBB4_127
; %bb.121:                              ;   in Loop: Header=BB4_85 Depth=2
	s_or_b32 exec_lo, exec_lo, s20
	s_and_saveexec_b32 s9, s3
	s_cbranch_execnz .LBB4_658
.LBB4_122:                              ;   in Loop: Header=BB4_85 Depth=2
	s_or_b32 exec_lo, exec_lo, s9
	s_and_saveexec_b32 s9, s7
	s_cbranch_execz .LBB4_124
.LBB4_123:                              ;   in Loop: Header=BB4_85 Depth=2
	v_add_nc_u64_e32 v[38:39], 1, v[38:39]
	global_wb scope:SCOPE_SYS
	s_wait_storecnt 0x0
	s_wait_loadcnt_dscnt 0x0
	flat_store_b64 v[48:49], v[38:39] scope:SCOPE_SYS
.LBB4_124:                              ;   in Loop: Header=BB4_85 Depth=2
	s_wait_xcnt 0x0
	s_or_b32 exec_lo, exec_lo, s9
	s_wait_loadcnt_dscnt 0x0
	v_and_b32_e32 v4, 0x7ffffff8, v114
	v_mov_b32_e32 v5, v55
	v_cmp_gt_i32_e64 s9, s16, v54
	s_delay_alu instid0(VALU_DEP_2) | instskip(SKIP_1) | instid1(SALU_CYCLE_1)
	v_cmp_eq_u64_e32 vcc_lo, 0x7ffffff8, v[4:5]
	s_and_b32 s20, vcc_lo, s9
	s_and_saveexec_b32 s9, s20
	s_cbranch_execz .LBB4_84
; %bb.125:                              ;   in Loop: Header=BB4_85 Depth=2
	v_and_b32_e32 v2, 7, v62
	v_dual_mov_b32 v16, v54 :: v_dual_ashrrev_i32 v17, 31, v54
	s_mov_b32 s20, 0
	s_delay_alu instid0(VALU_DEP_2) | instskip(NEXT) | instid1(VALU_DEP_1)
	v_mul_lo_u32 v4, s16, v2
	v_dual_mov_b32 v2, v55 :: v_dual_ashrrev_i32 v5, 31, v4
	s_delay_alu instid0(VALU_DEP_1) | instskip(NEXT) | instid1(VALU_DEP_1)
	v_lshlrev_b64_e32 v[4:5], 4, v[4:5]
	v_lshl_add_u64 v[4:5], v[16:17], 4, v[4:5]
	s_delay_alu instid0(VALU_DEP_1)
	v_add_nc_u64_e32 v[16:17], v[36:37], v[4:5]
.LBB4_126:                              ;   Parent Loop BB4_36 Depth=1
                                        ;     Parent Loop BB4_85 Depth=2
                                        ; =>    This Inner Loop Header: Depth=3
	s_delay_alu instid0(VALU_DEP_4)
	v_dual_mov_b32 v4, v2 :: v_dual_mov_b32 v5, v3
	v_add_nc_u32_e32 v54, v54, v20
	global_store_b128 v[16:17], v[2:5], off
	v_cmp_le_i32_e32 vcc_lo, s16, v54
	s_wait_xcnt 0x0
	v_add_nc_u64_e32 v[16:17], v[16:17], v[102:103]
	s_or_b32 s20, vcc_lo, s20
	s_delay_alu instid0(SALU_CYCLE_1)
	s_and_not1_b32 exec_lo, exec_lo, s20
	s_cbranch_execnz .LBB4_126
	s_branch .LBB4_84
.LBB4_127:                              ;   in Loop: Header=BB4_85 Depth=2
	v_and_b32_e32 v2, 7, v34
	s_wait_loadcnt_dscnt 0x0
	v_mad_nc_u64_u32 v[118:119], v68, v4, v[116:117]
	v_dual_mov_b32 v54, v0 :: v_dual_add_nc_u32 v63, 1, v34
	s_mov_b32 s21, 0
	v_mul_lo_u32 v16, v2, s16
	v_dual_mov_b32 v72, v60 :: v_dual_bitop2_b32 v5, 7, v114 bitop3:0x40
	s_delay_alu instid0(VALU_DEP_4) | instskip(SKIP_1) | instid1(VALU_DEP_4)
	v_mad_u32 v2, v69, v4, v119
	v_ashrrev_i32_e32 v4, 31, v4
	v_ashrrev_i32_e32 v17, 31, v16
	s_delay_alu instid0(VALU_DEP_4) | instskip(NEXT) | instid1(VALU_DEP_2)
	v_mul_lo_u32 v18, v5, s16
	v_lshl_add_u64 v[40:41], v[16:17], 4, v[32:33]
	s_delay_alu instid0(VALU_DEP_4) | instskip(NEXT) | instid1(VALU_DEP_3)
	v_mad_u32 v119, v68, v4, v2
	v_ashrrev_i32_e32 v19, 31, v18
	s_delay_alu instid0(VALU_DEP_1)
	v_lshl_add_u64 v[42:43], v[18:19], 4, v[36:37]
	s_branch .LBB4_130
.LBB4_128:                              ;   in Loop: Header=BB4_130 Depth=3
	s_or_b32 exec_lo, exec_lo, s22
.LBB4_129:                              ;   in Loop: Header=BB4_130 Depth=3
	s_delay_alu instid0(SALU_CYCLE_1) | instskip(SKIP_4) | instid1(VALU_DEP_3)
	s_or_b32 exec_lo, exec_lo, s9
	v_dual_lshlrev_b32 v2, 8, v74 :: v_dual_lshlrev_b32 v5, 8, v76
	v_dual_lshlrev_b32 v4, 16, v46 :: v_dual_lshlrev_b32 v17, 16, v77
	v_dual_lshlrev_b32 v18, 24, v47 :: v_dual_sub_nc_u32 v72, v72, v86
	v_add_nc_u64_e32 v[118:119], v[118:119], v[86:87]
	v_or3_b32 v2, v2, v73, v4
	v_lshlrev_b32_e32 v4, 24, v16
	v_or3_b32 v5, v5, v75, v17
	v_lshl_add_u64 v[16:17], v[54:55], 4, v[42:43]
	v_add_nc_u32_e32 v54, v54, v20
	v_or3_b32 v2, v2, v18, 0
	s_delay_alu instid0(VALU_DEP_4)
	v_or3_b32 v4, v5, v4, 0
	v_mov_b32_e32 v5, v3
	v_cmp_gt_i32_e32 vcc_lo, 1, v72
	global_store_b128 v[16:17], v[2:5], off
	s_or_b32 s21, vcc_lo, s21
	s_wait_xcnt 0x0
	s_and_not1_b32 exec_lo, exec_lo, s21
	s_cbranch_execz .LBB4_657
.LBB4_130:                              ;   Parent Loop BB4_36 Depth=1
                                        ;     Parent Loop BB4_85 Depth=2
                                        ; =>    This Loop Header: Depth=3
                                        ;         Child Loop BB4_138 Depth 4
	s_delay_alu instid0(VALU_DEP_3)
	v_dual_mov_b32 v5, v119 :: v_dual_bitop2_b32 v4, -4, v118 bitop3:0x40
	v_min_u32_e32 v16, 8, v72
	v_dual_mov_b32 v75, 0 :: v_dual_bitop2_b32 v17, 3, v118 bitop3:0x40
	v_mov_b32_e32 v76, 0
	global_load_b32 v2, v[4:5], off th:TH_LOAD_NT
	s_mov_b32 s9, exec_lo
	v_add_nc_u32_e32 v16, v17, v16
	s_wait_xcnt 0x0
	s_delay_alu instid0(VALU_DEP_1)
	v_cmpx_lt_u32_e32 4, v16
	s_cbranch_execz .LBB4_132
; %bb.131:                              ;   in Loop: Header=BB4_130 Depth=3
	global_load_b32 v76, v[4:5], off offset:4 th:TH_LOAD_NT
.LBB4_132:                              ;   in Loop: Header=BB4_130 Depth=3
	s_wait_xcnt 0x0
	s_or_b32 exec_lo, exec_lo, s9
	v_mov_b32_e32 v17, v55
	s_mov_b32 s9, exec_lo
	s_delay_alu instid0(VALU_DEP_1)
	v_cmpx_lt_u64_e32 8, v[16:17]
	s_cbranch_execz .LBB4_134
; %bb.133:                              ;   in Loop: Header=BB4_130 Depth=3
	global_load_b32 v75, v[4:5], off offset:8 th:TH_LOAD_NT
.LBB4_134:                              ;   in Loop: Header=BB4_130 Depth=3
	s_wait_xcnt 0x0
	s_or_b32 exec_lo, exec_lo, s9
	v_lshl_add_u64 v[4:5], v[54:55], 4, v[40:41]
	v_cmp_eq_u32_e32 vcc_lo, 0, v59
	v_mov_b32_e32 v59, 1
	global_load_b128 v[16:19], v[4:5], off th:TH_LOAD_NT
	s_wait_xcnt 0x0
	s_and_saveexec_b32 s22, vcc_lo
	s_cbranch_execz .LBB4_146
; %bb.135:                              ;   in Loop: Header=BB4_130 Depth=3
	s_wait_loadcnt 0x0
	v_cmp_ne_u32_e32 vcc_lo, v63, v17
	v_cmp_ne_u32_e64 s9, v63, v19
	v_mov_b32_e32 v59, 0
	s_or_b32 s9, vcc_lo, s9
	s_delay_alu instid0(SALU_CYCLE_1)
	s_and_saveexec_b32 s23, s9
	s_cbranch_execz .LBB4_145
; %bb.136:                              ;   in Loop: Header=BB4_130 Depth=3
	s_mov_b32 s27, 1
	s_mov_b32 s25, 0
                                        ; implicit-def: $sgpr24
                                        ; implicit-def: $sgpr26
	s_branch .LBB4_138
.LBB4_137:                              ;   in Loop: Header=BB4_138 Depth=4
	s_or_b32 exec_lo, exec_lo, s29
	s_delay_alu instid0(SALU_CYCLE_1) | instskip(NEXT) | instid1(SALU_CYCLE_1)
	s_and_b32 s9, exec_lo, s9
	s_or_b32 s25, s9, s25
	s_and_not1_b32 s9, s24, exec_lo
	s_and_b32 s24, s26, exec_lo
	s_delay_alu instid0(SALU_CYCLE_1)
	s_or_b32 s24, s9, s24
	s_and_not1_b32 exec_lo, exec_lo, s25
	s_cbranch_execz .LBB4_142
.LBB4_138:                              ;   Parent Loop BB4_36 Depth=1
                                        ;     Parent Loop BB4_85 Depth=2
                                        ;       Parent Loop BB4_130 Depth=3
                                        ; =>      This Inner Loop Header: Depth=4
	s_wait_loadcnt 0x0
	global_load_b128 v[16:19], v[4:5], off th:TH_LOAD_NT
	s_add_co_i32 s27, s27, 1
	s_mov_b32 s9, -1
	s_cmp_lg_u32 s27, 0x2710
	s_mov_b32 s28, -1
                                        ; implicit-def: $vgpr30
	s_cbranch_scc0 .LBB4_140
; %bb.139:                              ;   in Loop: Header=BB4_138 Depth=4
	s_or_b32 s26, s26, exec_lo
	s_wait_xcnt 0x0
	s_and_saveexec_b32 s29, s28
	s_cbranch_execz .LBB4_137
	s_branch .LBB4_141
.LBB4_140:                              ;   in Loop: Header=BB4_138 Depth=4
	s_trap 2
	ds_load_b64 v[44:45], v0
	s_mov_b32 s27, 0
	s_wait_storecnt 0x0
	s_wait_loadcnt_dscnt 0x0
	flat_load_b32 v30, v[44:45] scope:SCOPE_SYS
	s_wait_loadcnt_dscnt 0x0
	global_inv scope:SCOPE_SYS
	v_cmp_eq_u32_e32 vcc_lo, 0, v30
	s_or_not1_b32 s28, vcc_lo, exec_lo
	s_or_b32 s26, s26, exec_lo
	s_wait_xcnt 0x0
	s_and_saveexec_b32 s29, s28
	s_cbranch_execz .LBB4_137
.LBB4_141:                              ;   in Loop: Header=BB4_138 Depth=4
	s_wait_loadcnt 0x0
	v_cmp_eq_u32_e32 vcc_lo, v63, v17
	v_cmp_eq_u32_e64 s9, v63, v19
	s_and_not1_b32 s26, s26, exec_lo
	s_and_b32 s9, vcc_lo, s9
	s_delay_alu instid0(SALU_CYCLE_1)
	s_or_not1_b32 s9, s9, exec_lo
	s_branch .LBB4_137
.LBB4_142:                              ;   in Loop: Header=BB4_130 Depth=3
	s_or_b32 exec_lo, exec_lo, s25
	v_mov_b32_e32 v59, 0
	s_and_saveexec_b32 s9, s24
	s_delay_alu instid0(SALU_CYCLE_1)
	s_xor_b32 s9, exec_lo, s9
	s_cbranch_execz .LBB4_144
; %bb.143:                              ;   in Loop: Header=BB4_130 Depth=3
	v_mov_b32_e32 v59, 1
	s_wait_loadcnt 0x0
	s_wait_storecnt 0x0
	ds_store_b32 v0, v30
	s_trap 2
.LBB4_144:                              ;   in Loop: Header=BB4_130 Depth=3
	s_or_b32 exec_lo, exec_lo, s9
.LBB4_145:                              ;   in Loop: Header=BB4_130 Depth=3
	s_delay_alu instid0(SALU_CYCLE_1)
	s_or_b32 exec_lo, exec_lo, s23
.LBB4_146:                              ;   in Loop: Header=BB4_130 Depth=3
	s_delay_alu instid0(SALU_CYCLE_1) | instskip(SKIP_4) | instid1(VALU_DEP_3)
	s_or_b32 exec_lo, exec_lo, s22
	v_dual_lshlrev_b32 v77, 3, v118 :: v_dual_mov_b32 v5, v55
	s_wait_loadcnt 0x0
	v_and_b32_e32 v30, 0xff, v16
	v_bfe_i32 v45, v16, 0, 8
	v_alignbit_b32 v4, v76, v2, v77
	s_delay_alu instid0(VALU_DEP_3) | instskip(NEXT) | instid1(VALU_DEP_2)
	v_cmp_ne_u16_e32 vcc_lo, 0, v30
                                        ; implicit-def: $vgpr30
	v_bfe_i32 v2, v4, 0, 8
	s_and_saveexec_b32 s9, s6
	s_delay_alu instid0(SALU_CYCLE_1)
	s_xor_b32 s22, exec_lo, s9
	s_cbranch_execz .LBB4_168
; %bb.147:                              ;   in Loop: Header=BB4_130 Depth=3
	v_dual_mov_b32 v44, 0 :: v_dual_mov_b32 v30, 0
	s_and_saveexec_b32 s23, vcc_lo
	s_cbranch_execz .LBB4_157
; %bb.148:                              ;   in Loop: Header=BB4_130 Depth=3
	v_bfrev_b32_e32 v30, 1
	s_mov_b32 s24, exec_lo
	v_cmpx_ne_u16_e32 0xff80, v45
	s_cbranch_execz .LBB4_156
; %bb.149:                              ;   in Loop: Header=BB4_130 Depth=3
	v_and_b32_e32 v30, 0x7c, v16
	v_and_b32_e32 v46, 3, v16
	s_delay_alu instid0(VALU_DEP_2) | instskip(SKIP_1) | instid1(SALU_CYCLE_1)
	v_cmp_ne_u32_e64 s9, 0x7c, v30
                                        ; implicit-def: $vgpr30
	s_and_saveexec_b32 s25, s9
	s_xor_b32 s25, exec_lo, s25
	s_cbranch_execz .LBB4_153
; %bb.150:                              ;   in Loop: Header=BB4_130 Depth=3
	v_bfe_u32 v30, v16, 2, 5
	s_mov_b32 s26, exec_lo
	s_delay_alu instid0(VALU_DEP_1)
	v_cmpx_eq_u32_e32 0, v30
; %bb.151:                              ;   in Loop: Header=BB4_130 Depth=3
	v_clz_i32_u32_e32 v30, v46
	s_delay_alu instid0(VALU_DEP_1) | instskip(NEXT) | instid1(VALU_DEP_1)
	v_min_u32_e32 v30, 32, v30
	v_subrev_nc_u32_e32 v45, 29, v30
	v_sub_nc_u32_e32 v30, 30, v30
	s_delay_alu instid0(VALU_DEP_2) | instskip(NEXT) | instid1(VALU_DEP_1)
	v_lshlrev_b64_e32 v[46:47], v45, v[16:17]
	v_and_b32_e32 v46, 3, v46
; %bb.152:                              ;   in Loop: Header=BB4_130 Depth=3
	s_or_b32 exec_lo, exec_lo, s26
	v_lshlrev_b32_e32 v45, 24, v16
	s_delay_alu instid0(VALU_DEP_1) | instskip(NEXT) | instid1(VALU_DEP_1)
	v_and_b32_e32 v45, 0x80000000, v45
	v_lshl_add_u32 v30, v30, 23, v45
                                        ; implicit-def: $vgpr45
	s_delay_alu instid0(VALU_DEP_1) | instskip(NEXT) | instid1(VALU_DEP_1)
	v_lshl_or_b32 v30, v46, 21, v30
                                        ; implicit-def: $vgpr46
	v_add_nc_u32_e32 v30, 0x38000000, v30
.LBB4_153:                              ;   in Loop: Header=BB4_130 Depth=3
	s_and_not1_saveexec_b32 s25, s25
; %bb.154:                              ;   in Loop: Header=BB4_130 Depth=3
	v_cmp_lt_i16_e64 s9, -1, v45
	s_delay_alu instid0(VALU_DEP_1) | instskip(SKIP_1) | instid1(VALU_DEP_1)
	v_cndmask_b32_e64 v30, 0xff800000, v21, s9
	v_cmp_eq_u32_e64 s9, 0, v46
	v_cndmask_b32_e64 v30, 0x7f800001, v30, s9
; %bb.155:                              ;   in Loop: Header=BB4_130 Depth=3
	s_or_b32 exec_lo, exec_lo, s25
.LBB4_156:                              ;   in Loop: Header=BB4_130 Depth=3
	s_delay_alu instid0(SALU_CYCLE_1)
	s_or_b32 exec_lo, exec_lo, s24
.LBB4_157:                              ;   in Loop: Header=BB4_130 Depth=3
	s_delay_alu instid0(SALU_CYCLE_1) | instskip(NEXT) | instid1(SALU_CYCLE_1)
	s_or_b32 exec_lo, exec_lo, s23
	s_mov_b32 s23, exec_lo
	v_cmpx_ne_u16_e32 0, v2
	s_cbranch_execz .LBB4_167
; %bb.158:                              ;   in Loop: Header=BB4_130 Depth=3
	v_bfrev_b32_e32 v44, 1
	s_mov_b32 s24, exec_lo
	v_cmpx_ne_u16_e32 0xff80, v2
	s_cbranch_execz .LBB4_166
; %bb.159:                              ;   in Loop: Header=BB4_130 Depth=3
	v_and_b32_e32 v44, 0x7c, v4
	v_and_b32_e32 v45, 3, v4
	s_delay_alu instid0(VALU_DEP_2) | instskip(SKIP_1) | instid1(SALU_CYCLE_1)
	v_cmp_ne_u32_e64 s9, 0x7c, v44
                                        ; implicit-def: $vgpr44
	s_and_saveexec_b32 s25, s9
	s_xor_b32 s25, exec_lo, s25
	s_cbranch_execz .LBB4_163
; %bb.160:                              ;   in Loop: Header=BB4_130 Depth=3
	v_bfe_u32 v2, v4, 2, 5
	s_mov_b32 s26, exec_lo
	s_delay_alu instid0(VALU_DEP_1)
	v_cmpx_eq_u32_e32 0, v2
; %bb.161:                              ;   in Loop: Header=BB4_130 Depth=3
	v_clz_i32_u32_e32 v2, v45
	s_delay_alu instid0(VALU_DEP_1) | instskip(NEXT) | instid1(VALU_DEP_1)
	v_min_u32_e32 v2, 32, v2
	v_subrev_nc_u32_e32 v44, 29, v2
	s_delay_alu instid0(VALU_DEP_1) | instskip(NEXT) | instid1(VALU_DEP_1)
	v_lshlrev_b64_e32 v[44:45], v44, v[4:5]
	v_dual_sub_nc_u32 v2, 30, v2 :: v_dual_bitop2_b32 v45, 3, v44 bitop3:0x40
; %bb.162:                              ;   in Loop: Header=BB4_130 Depth=3
	s_or_b32 exec_lo, exec_lo, s26
	v_lshlrev_b32_e32 v44, 24, v4
	s_delay_alu instid0(VALU_DEP_1) | instskip(NEXT) | instid1(VALU_DEP_1)
	v_and_b32_e32 v44, 0x80000000, v44
	v_lshl_add_u32 v2, v2, 23, v44
	s_delay_alu instid0(VALU_DEP_1) | instskip(NEXT) | instid1(VALU_DEP_1)
	v_lshl_or_b32 v2, v45, 21, v2
                                        ; implicit-def: $vgpr45
	v_add_nc_u32_e32 v44, 0x38000000, v2
                                        ; implicit-def: $vgpr2
.LBB4_163:                              ;   in Loop: Header=BB4_130 Depth=3
	s_and_not1_saveexec_b32 s25, s25
; %bb.164:                              ;   in Loop: Header=BB4_130 Depth=3
	v_cmp_lt_i16_e64 s9, -1, v2
	s_delay_alu instid0(VALU_DEP_1) | instskip(SKIP_1) | instid1(VALU_DEP_1)
	v_cndmask_b32_e64 v2, 0xff800000, v21, s9
	v_cmp_eq_u32_e64 s9, 0, v45
	v_cndmask_b32_e64 v44, 0x7f800001, v2, s9
; %bb.165:                              ;   in Loop: Header=BB4_130 Depth=3
	s_or_b32 exec_lo, exec_lo, s25
.LBB4_166:                              ;   in Loop: Header=BB4_130 Depth=3
	s_delay_alu instid0(SALU_CYCLE_1)
	s_or_b32 exec_lo, exec_lo, s24
.LBB4_167:                              ;   in Loop: Header=BB4_130 Depth=3
	s_delay_alu instid0(SALU_CYCLE_1) | instskip(NEXT) | instid1(VALU_DEP_1)
	s_or_b32 exec_lo, exec_lo, s23
	v_dual_max_num_f32 v2, v44, v44 :: v_dual_max_num_f32 v30, v30, v30
                                        ; implicit-def: $vgpr45
	s_delay_alu instid0(VALU_DEP_1)
	v_max_num_f32_e32 v30, v30, v2
                                        ; implicit-def: $vgpr2
.LBB4_168:                              ;   in Loop: Header=BB4_130 Depth=3
	s_and_not1_saveexec_b32 s9, s22
	s_cbranch_execz .LBB4_190
; %bb.169:                              ;   in Loop: Header=BB4_130 Depth=3
	v_dual_mov_b32 v44, 0 :: v_dual_mov_b32 v30, 0
	s_and_saveexec_b32 s22, vcc_lo
	s_cbranch_execz .LBB4_179
; %bb.170:                              ;   in Loop: Header=BB4_130 Depth=3
	v_bfrev_b32_e32 v30, 1
	s_mov_b32 s23, exec_lo
	v_cmpx_ne_u16_e32 0xff80, v45
	s_cbranch_execz .LBB4_178
; %bb.171:                              ;   in Loop: Header=BB4_130 Depth=3
	v_and_b32_e32 v30, 0x7c, v16
	v_and_b32_e32 v46, 3, v16
	s_delay_alu instid0(VALU_DEP_2) | instskip(SKIP_1) | instid1(SALU_CYCLE_1)
	v_cmp_ne_u32_e32 vcc_lo, 0x7c, v30
                                        ; implicit-def: $vgpr30
	s_and_saveexec_b32 s24, vcc_lo
	s_xor_b32 s24, exec_lo, s24
	s_cbranch_execz .LBB4_175
; %bb.172:                              ;   in Loop: Header=BB4_130 Depth=3
	v_bfe_u32 v30, v16, 2, 5
	s_mov_b32 s25, exec_lo
	s_delay_alu instid0(VALU_DEP_1)
	v_cmpx_eq_u32_e32 0, v30
; %bb.173:                              ;   in Loop: Header=BB4_130 Depth=3
	v_clz_i32_u32_e32 v30, v46
	s_delay_alu instid0(VALU_DEP_1) | instskip(NEXT) | instid1(VALU_DEP_1)
	v_min_u32_e32 v30, 32, v30
	v_subrev_nc_u32_e32 v45, 29, v30
	v_sub_nc_u32_e32 v30, 30, v30
	s_delay_alu instid0(VALU_DEP_2) | instskip(NEXT) | instid1(VALU_DEP_1)
	v_lshlrev_b64_e32 v[46:47], v45, v[16:17]
	v_and_b32_e32 v46, 3, v46
; %bb.174:                              ;   in Loop: Header=BB4_130 Depth=3
	s_or_b32 exec_lo, exec_lo, s25
	v_lshlrev_b32_e32 v17, 24, v16
                                        ; implicit-def: $vgpr45
	s_delay_alu instid0(VALU_DEP_1) | instskip(NEXT) | instid1(VALU_DEP_1)
	v_and_b32_e32 v17, 0x80000000, v17
	v_lshl_add_u32 v17, v30, 23, v17
	s_delay_alu instid0(VALU_DEP_1) | instskip(NEXT) | instid1(VALU_DEP_1)
	v_lshl_or_b32 v17, v46, 21, v17
                                        ; implicit-def: $vgpr46
	v_add_nc_u32_e32 v30, 0x38000000, v17
.LBB4_175:                              ;   in Loop: Header=BB4_130 Depth=3
	s_and_not1_saveexec_b32 s24, s24
; %bb.176:                              ;   in Loop: Header=BB4_130 Depth=3
	v_cmp_lt_i16_e32 vcc_lo, -1, v45
	v_cndmask_b32_e32 v17, 0xff800000, v21, vcc_lo
	v_cmp_eq_u32_e32 vcc_lo, 0, v46
	s_delay_alu instid0(VALU_DEP_2)
	v_cndmask_b32_e32 v30, 0x7f800001, v17, vcc_lo
; %bb.177:                              ;   in Loop: Header=BB4_130 Depth=3
	s_or_b32 exec_lo, exec_lo, s24
.LBB4_178:                              ;   in Loop: Header=BB4_130 Depth=3
	s_delay_alu instid0(SALU_CYCLE_1)
	s_or_b32 exec_lo, exec_lo, s23
.LBB4_179:                              ;   in Loop: Header=BB4_130 Depth=3
	s_delay_alu instid0(SALU_CYCLE_1) | instskip(NEXT) | instid1(SALU_CYCLE_1)
	s_or_b32 exec_lo, exec_lo, s22
	s_mov_b32 s22, exec_lo
	v_cmpx_ne_u16_e32 0, v2
	s_cbranch_execz .LBB4_189
; %bb.180:                              ;   in Loop: Header=BB4_130 Depth=3
	v_bfrev_b32_e32 v44, 1
	s_mov_b32 s23, exec_lo
	v_cmpx_ne_u16_e32 0xff80, v2
	s_cbranch_execz .LBB4_188
; %bb.181:                              ;   in Loop: Header=BB4_130 Depth=3
	v_and_b32_e32 v44, 0x7c, v4
	v_and_b32_e32 v17, 3, v4
	s_delay_alu instid0(VALU_DEP_2) | instskip(SKIP_1) | instid1(SALU_CYCLE_1)
	v_cmp_ne_u32_e32 vcc_lo, 0x7c, v44
                                        ; implicit-def: $vgpr44
	s_and_saveexec_b32 s24, vcc_lo
	s_xor_b32 s24, exec_lo, s24
	s_cbranch_execz .LBB4_185
; %bb.182:                              ;   in Loop: Header=BB4_130 Depth=3
	v_bfe_u32 v2, v4, 2, 5
	s_mov_b32 s25, exec_lo
	s_delay_alu instid0(VALU_DEP_1)
	v_cmpx_eq_u32_e32 0, v2
; %bb.183:                              ;   in Loop: Header=BB4_130 Depth=3
	v_clz_i32_u32_e32 v2, v17
	s_delay_alu instid0(VALU_DEP_1) | instskip(NEXT) | instid1(VALU_DEP_1)
	v_min_u32_e32 v2, 32, v2
	v_subrev_nc_u32_e32 v17, 29, v2
	s_delay_alu instid0(VALU_DEP_1) | instskip(NEXT) | instid1(VALU_DEP_1)
	v_lshlrev_b64_e32 v[44:45], v17, v[4:5]
	v_dual_sub_nc_u32 v2, 30, v2 :: v_dual_bitop2_b32 v17, 3, v44 bitop3:0x40
; %bb.184:                              ;   in Loop: Header=BB4_130 Depth=3
	s_or_b32 exec_lo, exec_lo, s25
	v_lshlrev_b32_e32 v5, 24, v4
	s_delay_alu instid0(VALU_DEP_1) | instskip(NEXT) | instid1(VALU_DEP_1)
	v_and_b32_e32 v5, 0x80000000, v5
	v_lshl_add_u32 v2, v2, 23, v5
	s_delay_alu instid0(VALU_DEP_1) | instskip(NEXT) | instid1(VALU_DEP_1)
	v_lshl_or_b32 v2, v17, 21, v2
                                        ; implicit-def: $vgpr17
	v_add_nc_u32_e32 v44, 0x38000000, v2
                                        ; implicit-def: $vgpr2
.LBB4_185:                              ;   in Loop: Header=BB4_130 Depth=3
	s_and_not1_saveexec_b32 s24, s24
; %bb.186:                              ;   in Loop: Header=BB4_130 Depth=3
	v_cmp_lt_i16_e32 vcc_lo, -1, v2
	v_cndmask_b32_e32 v2, 0xff800000, v21, vcc_lo
	v_cmp_eq_u32_e32 vcc_lo, 0, v17
	s_delay_alu instid0(VALU_DEP_2)
	v_cndmask_b32_e32 v44, 0x7f800001, v2, vcc_lo
; %bb.187:                              ;   in Loop: Header=BB4_130 Depth=3
	s_or_b32 exec_lo, exec_lo, s24
.LBB4_188:                              ;   in Loop: Header=BB4_130 Depth=3
	s_delay_alu instid0(SALU_CYCLE_1)
	s_or_b32 exec_lo, exec_lo, s23
.LBB4_189:                              ;   in Loop: Header=BB4_130 Depth=3
	s_delay_alu instid0(SALU_CYCLE_1) | instskip(NEXT) | instid1(VALU_DEP_1)
	s_or_b32 exec_lo, exec_lo, s22
	v_dual_max_num_f32 v2, v44, v44 :: v_dual_max_num_f32 v5, v30, v30
	s_delay_alu instid0(VALU_DEP_1)
	v_min_num_f32_e32 v30, v5, v2
.LBB4_190:                              ;   in Loop: Header=BB4_130 Depth=3
	s_or_b32 exec_lo, exec_lo, s9
	s_delay_alu instid0(VALU_DEP_1) | instskip(SKIP_4) | instid1(VALU_DEP_3)
	v_and_b32_e32 v46, 0x7f800000, v30
	v_dual_mov_b32 v47, v55 :: v_dual_mov_b32 v45, v55
	v_and_b32_e32 v44, 0x7fffff, v30
	v_lshrrev_b32_e32 v2, 24, v30
                                        ; implicit-def: $vgpr73
	s_mov_b32 s9, exec_lo
	v_cmpx_ne_u64_e32 0x7f800000, v[46:47]
	s_xor_b32 s22, exec_lo, s9
	s_cbranch_execz .LBB4_204
; %bb.191:                              ;   in Loop: Header=BB4_130 Depth=3
	v_and_b32_e32 v46, 0x7fffffff, v30
	v_mov_b32_e32 v47, v55
	v_and_b32_e32 v2, 0x80, v2
                                        ; implicit-def: $vgpr73
	s_mov_b32 s9, exec_lo
	s_delay_alu instid0(VALU_DEP_2)
	v_cmpx_gt_u64_e32 0x47600001, v[46:47]
	s_xor_b32 s23, exec_lo, s9
	s_cbranch_execz .LBB4_201
; %bb.192:                              ;   in Loop: Header=BB4_130 Depth=3
	v_mov_b32_e32 v73, 0
	s_mov_b32 s24, exec_lo
	v_cmpx_ne_u32_e32 0, v30
	s_cbranch_execz .LBB4_200
; %bb.193:                              ;   in Loop: Header=BB4_130 Depth=3
	v_bfe_u32 v5, v30, 23, 8
	v_or_b32_e32 v73, 0x800000, v44
	s_delay_alu instid0(VALU_DEP_2) | instskip(SKIP_1) | instid1(VALU_DEP_2)
	v_sub_nc_u32_e32 v17, 0x71, v5
	v_cmp_gt_u32_e32 vcc_lo, 0x72, v5
	v_cndmask_b32_e32 v17, 0, v17, vcc_lo
	v_cmp_eq_u32_e32 vcc_lo, 0, v5
	s_delay_alu instid0(VALU_DEP_2) | instskip(NEXT) | instid1(VALU_DEP_1)
	v_cndmask_b32_e64 v17, v17, 0x70, vcc_lo
	v_dual_cndmask_b32 v44, v73, v44, vcc_lo :: v_dual_add_nc_u32 v30, 21, v17
	s_delay_alu instid0(VALU_DEP_1) | instskip(SKIP_1) | instid1(VALU_DEP_1)
	v_lshlrev_b64_e64 v[46:47], v30, -1
	v_add_nc_u32_e32 v30, 20, v17
	v_lshlrev_b64_e64 v[78:79], v30, 1
	s_delay_alu instid0(VALU_DEP_3) | instskip(SKIP_2) | instid1(VALU_DEP_1)
	v_bfi_b32 v46, v46, 0, v44
	v_lshrrev_b64 v[44:45], v17, v[44:45]
	v_bfi_b32 v47, v47, 0, 0
	v_cmp_eq_u64_e64 s9, v[46:47], v[78:79]
	s_delay_alu instid0(VALU_DEP_3)
	v_mov_b64_e32 v[46:47], v[44:45]
	s_and_saveexec_b32 s25, s9
; %bb.194:                              ;   in Loop: Header=BB4_130 Depth=3
	v_bfe_u32 v46, v44, 21, 1
	v_mov_b32_e32 v47, v55
	s_delay_alu instid0(VALU_DEP_1) | instskip(NEXT) | instid1(VALU_DEP_1)
	v_add_nc_u64_e32 v[46:47], v[44:45], v[46:47]
	v_add_nc_u64_e32 v[46:47], -1, v[46:47]
; %bb.195:                              ;   in Loop: Header=BB4_130 Depth=3
	s_or_b32 exec_lo, exec_lo, s25
	v_add_nc_u32_e32 v5, 0xffffff81, v5
	v_lshrrev_b32_e32 v30, 23, v44
	s_mov_b32 s9, exec_lo
	v_mov_b32_e32 v45, v55
	s_delay_alu instid0(VALU_DEP_3) | instskip(NEXT) | instid1(VALU_DEP_1)
	v_cndmask_b32_e64 v5, v5, 0xffffff82, vcc_lo
	v_add3_u32 v17, v17, v5, v30
	v_and_b32_e32 v5, 0x1fffff, v46
	s_delay_alu instid0(VALU_DEP_1) | instskip(NEXT) | instid1(VALU_DEP_1)
	v_dual_add_nc_u32 v30, 14, v17 :: v_dual_add_nc_u32 v44, v5, v44
                                        ; implicit-def: $vgpr5
	v_cmpx_ne_u32_e32 0, v30
	s_xor_b32 s9, exec_lo, s9
; %bb.196:                              ;   in Loop: Header=BB4_130 Depth=3
	s_delay_alu instid0(VALU_DEP_2) | instskip(SKIP_2) | instid1(VALU_DEP_2)
	v_cmp_lt_u64_e32 vcc_lo, 0xffffff, v[44:45]
	v_add_nc_u32_e32 v5, 15, v17
	v_cndmask_b32_e64 v17, 0, 1, vcc_lo
	v_cndmask_b32_e32 v5, v30, v5, vcc_lo
	s_delay_alu instid0(VALU_DEP_2)
	v_lshrrev_b64 v[44:45], v17, v[44:45]
; %bb.197:                              ;   in Loop: Header=BB4_130 Depth=3
	s_and_not1_saveexec_b32 s9, s9
; %bb.198:                              ;   in Loop: Header=BB4_130 Depth=3
	s_delay_alu instid0(VALU_DEP_1)
	v_bfe_u32 v5, v44, 23, 1
; %bb.199:                              ;   in Loop: Header=BB4_130 Depth=3
	s_or_b32 exec_lo, exec_lo, s9
	s_delay_alu instid0(VALU_DEP_2) | instskip(NEXT) | instid1(VALU_DEP_2)
	v_lshrrev_b64 v[44:45], 21, v[44:45]
	v_cmp_gt_i32_e32 vcc_lo, 32, v5
	v_min_i32_e32 v17, 31, v5
	v_cmp_eq_u32_e64 s9, 0, v5
	s_delay_alu instid0(VALU_DEP_2) | instskip(SKIP_1) | instid1(VALU_DEP_2)
	v_dual_cndmask_b32 v44, 3, v44 :: v_dual_lshlrev_b32 v17, 2, v17
	v_cndmask_b32_e32 v45, 0, v45, vcc_lo
	v_and_b32_e32 v17, 0xfc, v17
	s_delay_alu instid0(VALU_DEP_2) | instskip(NEXT) | instid1(VALU_DEP_2)
	v_cmp_eq_u64_e32 vcc_lo, 0, v[44:45]
	v_and_or_b32 v5, v44, 3, v17
	s_and_b32 s9, s9, vcc_lo
	s_delay_alu instid0(VALU_DEP_1) | instid1(SALU_CYCLE_1)
	v_cndmask_b32_e64 v5, v5, 0, s9
	s_delay_alu instid0(VALU_DEP_1)
	v_or_b32_e32 v73, v5, v2
.LBB4_200:                              ;   in Loop: Header=BB4_130 Depth=3
	s_or_b32 exec_lo, exec_lo, s24
                                        ; implicit-def: $vgpr2
.LBB4_201:                              ;   in Loop: Header=BB4_130 Depth=3
	s_and_not1_saveexec_b32 s9, s23
; %bb.202:                              ;   in Loop: Header=BB4_130 Depth=3
	v_or_b32_e32 v73, 0x7b, v2
; %bb.203:                              ;   in Loop: Header=BB4_130 Depth=3
	s_or_b32 exec_lo, exec_lo, s9
                                        ; implicit-def: $vgpr30
                                        ; implicit-def: $vgpr44_vgpr45
                                        ; implicit-def: $vgpr2
.LBB4_204:                              ;   in Loop: Header=BB4_130 Depth=3
	s_and_not1_saveexec_b32 s9, s22
	s_cbranch_execz .LBB4_210
; %bb.205:                              ;   in Loop: Header=BB4_130 Depth=3
	s_mov_b32 s22, exec_lo
                                        ; implicit-def: $vgpr73
	v_cmpx_ne_u64_e32 0, v[44:45]
	s_xor_b32 s22, exec_lo, s22
; %bb.206:                              ;   in Loop: Header=BB4_130 Depth=3
	v_or_b32_e32 v73, 0x7f, v2
                                        ; implicit-def: $vgpr30
; %bb.207:                              ;   in Loop: Header=BB4_130 Depth=3
	s_and_not1_saveexec_b32 s22, s22
; %bb.208:                              ;   in Loop: Header=BB4_130 Depth=3
	v_cmp_lt_i32_e32 vcc_lo, -1, v30
	v_cndmask_b32_e32 v73, 0xfc, v58, vcc_lo
; %bb.209:                              ;   in Loop: Header=BB4_130 Depth=3
	s_or_b32 exec_lo, exec_lo, s22
.LBB4_210:                              ;   in Loop: Header=BB4_130 Depth=3
	s_delay_alu instid0(SALU_CYCLE_1) | instskip(SKIP_2) | instid1(VALU_DEP_2)
	s_or_b32 exec_lo, exec_lo, s9
	v_lshrrev_b16 v46, 8, v16
	v_lshrrev_b16 v44, 8, v4
                                        ; implicit-def: $vgpr5
	v_and_b32_e32 v17, 0xffff, v46
	v_cmp_ne_u16_e32 vcc_lo, 0, v46
	s_and_saveexec_b32 s9, s6
	s_delay_alu instid0(SALU_CYCLE_1)
	s_xor_b32 s22, exec_lo, s9
	s_cbranch_execz .LBB4_232
; %bb.211:                              ;   in Loop: Header=BB4_130 Depth=3
	v_dual_mov_b32 v5, 0 :: v_dual_mov_b32 v2, 0
	s_and_saveexec_b32 s23, vcc_lo
	s_cbranch_execz .LBB4_221
; %bb.212:                              ;   in Loop: Header=BB4_130 Depth=3
	v_bfrev_b32_e32 v2, 1
	s_mov_b32 s24, exec_lo
	v_cmpx_ne_u16_e32 0x80, v46
	s_cbranch_execz .LBB4_220
; %bb.213:                              ;   in Loop: Header=BB4_130 Depth=3
	v_and_b32_e32 v2, 0x7c, v17
	v_and_b32_e32 v30, 3, v17
	s_delay_alu instid0(VALU_DEP_2) | instskip(SKIP_1) | instid1(SALU_CYCLE_1)
	v_cmp_ne_u32_e64 s9, 0x7c, v2
                                        ; implicit-def: $vgpr2
	s_and_saveexec_b32 s25, s9
	s_xor_b32 s25, exec_lo, s25
	s_cbranch_execz .LBB4_217
; %bb.214:                              ;   in Loop: Header=BB4_130 Depth=3
	v_bfe_u32 v2, v17, 2, 5
	s_mov_b32 s26, exec_lo
	s_delay_alu instid0(VALU_DEP_1)
	v_cmpx_eq_u32_e32 0, v2
	s_cbranch_execz .LBB4_216
; %bb.215:                              ;   in Loop: Header=BB4_130 Depth=3
	v_clz_i32_u32_e32 v2, v30
	s_delay_alu instid0(VALU_DEP_1) | instskip(SKIP_1) | instid1(VALU_DEP_2)
	v_min_u32_e32 v2, 32, v2
	v_mov_b32_e32 v47, v55
	v_subrev_nc_u32_e32 v17, 29, v2
	v_sub_nc_u32_e32 v2, 30, v2
	s_delay_alu instid0(VALU_DEP_2) | instskip(NEXT) | instid1(VALU_DEP_1)
	v_lshlrev_b64_e32 v[46:47], v17, v[46:47]
	v_and_b32_e32 v30, 3, v46
.LBB4_216:                              ;   in Loop: Header=BB4_130 Depth=3
	s_or_b32 exec_lo, exec_lo, s26
	v_lshlrev_b32_e32 v17, 16, v16
	s_delay_alu instid0(VALU_DEP_1) | instskip(NEXT) | instid1(VALU_DEP_1)
	v_and_b32_e32 v17, 0x80000000, v17
	v_lshl_add_u32 v2, v2, 23, v17
	s_delay_alu instid0(VALU_DEP_1) | instskip(NEXT) | instid1(VALU_DEP_1)
	v_lshl_or_b32 v2, v30, 21, v2
                                        ; implicit-def: $vgpr30
	v_add_nc_u32_e32 v2, 0x38000000, v2
.LBB4_217:                              ;   in Loop: Header=BB4_130 Depth=3
	s_and_not1_saveexec_b32 s25, s25
; %bb.218:                              ;   in Loop: Header=BB4_130 Depth=3
	v_cmp_lt_i16_e64 s9, -1, v16
	s_delay_alu instid0(VALU_DEP_1) | instskip(SKIP_1) | instid1(VALU_DEP_1)
	v_cndmask_b32_e64 v2, 0xff800000, v21, s9
	v_cmp_eq_u32_e64 s9, 0, v30
	v_cndmask_b32_e64 v2, 0x7f800001, v2, s9
; %bb.219:                              ;   in Loop: Header=BB4_130 Depth=3
	s_or_b32 exec_lo, exec_lo, s25
.LBB4_220:                              ;   in Loop: Header=BB4_130 Depth=3
	s_delay_alu instid0(SALU_CYCLE_1)
	s_or_b32 exec_lo, exec_lo, s24
.LBB4_221:                              ;   in Loop: Header=BB4_130 Depth=3
	s_delay_alu instid0(SALU_CYCLE_1) | instskip(NEXT) | instid1(SALU_CYCLE_1)
	s_or_b32 exec_lo, exec_lo, s23
	s_mov_b32 s23, exec_lo
	v_cmpx_ne_u16_e32 0, v44
	s_cbranch_execz .LBB4_231
; %bb.222:                              ;   in Loop: Header=BB4_130 Depth=3
	v_bfrev_b32_e32 v5, 1
	s_mov_b32 s24, exec_lo
	v_cmpx_ne_u16_e32 0x80, v44
	s_cbranch_execz .LBB4_230
; %bb.223:                              ;   in Loop: Header=BB4_130 Depth=3
	v_and_b32_e32 v30, 0xffff, v44
	s_delay_alu instid0(VALU_DEP_1) | instskip(SKIP_1) | instid1(VALU_DEP_2)
	v_and_b32_e32 v5, 0x7c, v30
	v_and_b32_e32 v17, 3, v30
	v_cmp_ne_u32_e64 s9, 0x7c, v5
                                        ; implicit-def: $vgpr5
	s_and_saveexec_b32 s25, s9
	s_delay_alu instid0(SALU_CYCLE_1)
	s_xor_b32 s25, exec_lo, s25
	s_cbranch_execz .LBB4_227
; %bb.224:                              ;   in Loop: Header=BB4_130 Depth=3
	v_bfe_u32 v5, v30, 2, 5
	s_mov_b32 s26, exec_lo
	s_delay_alu instid0(VALU_DEP_1)
	v_cmpx_eq_u32_e32 0, v5
	s_cbranch_execz .LBB4_226
; %bb.225:                              ;   in Loop: Header=BB4_130 Depth=3
	v_clz_i32_u32_e32 v5, v17
	s_delay_alu instid0(VALU_DEP_1) | instskip(SKIP_1) | instid1(VALU_DEP_2)
	v_min_u32_e32 v5, 32, v5
	v_mov_b32_e32 v45, v55
	v_subrev_nc_u32_e32 v17, 29, v5
	v_sub_nc_u32_e32 v5, 30, v5
	s_delay_alu instid0(VALU_DEP_2) | instskip(NEXT) | instid1(VALU_DEP_1)
	v_lshlrev_b64_e32 v[44:45], v17, v[44:45]
	v_and_b32_e32 v17, 3, v44
.LBB4_226:                              ;   in Loop: Header=BB4_130 Depth=3
	s_or_b32 exec_lo, exec_lo, s26
	v_lshlrev_b32_e32 v30, 16, v4
	s_delay_alu instid0(VALU_DEP_1) | instskip(NEXT) | instid1(VALU_DEP_1)
	v_and_b32_e32 v30, 0x80000000, v30
	v_lshl_add_u32 v5, v5, 23, v30
	s_delay_alu instid0(VALU_DEP_1) | instskip(NEXT) | instid1(VALU_DEP_1)
	v_lshl_or_b32 v5, v17, 21, v5
                                        ; implicit-def: $vgpr17
	v_add_nc_u32_e32 v5, 0x38000000, v5
.LBB4_227:                              ;   in Loop: Header=BB4_130 Depth=3
	s_and_not1_saveexec_b32 s25, s25
; %bb.228:                              ;   in Loop: Header=BB4_130 Depth=3
	v_cmp_lt_i16_e64 s9, -1, v4
	s_delay_alu instid0(VALU_DEP_1) | instskip(SKIP_1) | instid1(VALU_DEP_1)
	v_cndmask_b32_e64 v5, 0xff800000, v21, s9
	v_cmp_eq_u32_e64 s9, 0, v17
	v_cndmask_b32_e64 v5, 0x7f800001, v5, s9
; %bb.229:                              ;   in Loop: Header=BB4_130 Depth=3
	s_or_b32 exec_lo, exec_lo, s25
.LBB4_230:                              ;   in Loop: Header=BB4_130 Depth=3
	s_delay_alu instid0(SALU_CYCLE_1)
	s_or_b32 exec_lo, exec_lo, s24
.LBB4_231:                              ;   in Loop: Header=BB4_130 Depth=3
	s_delay_alu instid0(SALU_CYCLE_1) | instskip(NEXT) | instid1(VALU_DEP_1)
	s_or_b32 exec_lo, exec_lo, s23
	v_dual_max_num_f32 v5, v5, v5 :: v_dual_max_num_f32 v2, v2, v2
                                        ; implicit-def: $vgpr44
                                        ; implicit-def: $vgpr46
                                        ; implicit-def: $vgpr17
	s_delay_alu instid0(VALU_DEP_1)
	v_max_num_f32_e32 v5, v2, v5
.LBB4_232:                              ;   in Loop: Header=BB4_130 Depth=3
	s_and_not1_saveexec_b32 s9, s22
	s_cbranch_execz .LBB4_254
; %bb.233:                              ;   in Loop: Header=BB4_130 Depth=3
	v_dual_mov_b32 v5, 0 :: v_dual_mov_b32 v2, 0
	s_and_saveexec_b32 s22, vcc_lo
	s_cbranch_execz .LBB4_243
; %bb.234:                              ;   in Loop: Header=BB4_130 Depth=3
	v_bfrev_b32_e32 v2, 1
	s_mov_b32 s23, exec_lo
	v_cmpx_ne_u16_e32 0x80, v46
	s_cbranch_execz .LBB4_242
; %bb.235:                              ;   in Loop: Header=BB4_130 Depth=3
	v_and_b32_e32 v2, 0x7c, v17
	v_and_b32_e32 v30, 3, v17
	s_delay_alu instid0(VALU_DEP_2) | instskip(SKIP_1) | instid1(SALU_CYCLE_1)
	v_cmp_ne_u32_e32 vcc_lo, 0x7c, v2
                                        ; implicit-def: $vgpr2
	s_and_saveexec_b32 s24, vcc_lo
	s_xor_b32 s24, exec_lo, s24
	s_cbranch_execz .LBB4_239
; %bb.236:                              ;   in Loop: Header=BB4_130 Depth=3
	v_bfe_u32 v2, v17, 2, 5
	s_mov_b32 s25, exec_lo
	s_delay_alu instid0(VALU_DEP_1)
	v_cmpx_eq_u32_e32 0, v2
	s_cbranch_execz .LBB4_238
; %bb.237:                              ;   in Loop: Header=BB4_130 Depth=3
	v_clz_i32_u32_e32 v2, v30
	s_delay_alu instid0(VALU_DEP_1) | instskip(SKIP_1) | instid1(VALU_DEP_2)
	v_min_u32_e32 v2, 32, v2
	v_mov_b32_e32 v47, v55
	v_subrev_nc_u32_e32 v17, 29, v2
	v_sub_nc_u32_e32 v2, 30, v2
	s_delay_alu instid0(VALU_DEP_2) | instskip(NEXT) | instid1(VALU_DEP_1)
	v_lshlrev_b64_e32 v[46:47], v17, v[46:47]
	v_and_b32_e32 v30, 3, v46
.LBB4_238:                              ;   in Loop: Header=BB4_130 Depth=3
	s_or_b32 exec_lo, exec_lo, s25
	v_lshlrev_b32_e32 v17, 16, v16
	s_delay_alu instid0(VALU_DEP_1) | instskip(NEXT) | instid1(VALU_DEP_1)
	v_and_b32_e32 v17, 0x80000000, v17
	v_lshl_add_u32 v2, v2, 23, v17
	s_delay_alu instid0(VALU_DEP_1) | instskip(NEXT) | instid1(VALU_DEP_1)
	v_lshl_or_b32 v2, v30, 21, v2
                                        ; implicit-def: $vgpr30
	v_add_nc_u32_e32 v2, 0x38000000, v2
.LBB4_239:                              ;   in Loop: Header=BB4_130 Depth=3
	s_and_not1_saveexec_b32 s24, s24
; %bb.240:                              ;   in Loop: Header=BB4_130 Depth=3
	v_cmp_lt_i16_e32 vcc_lo, -1, v16
	v_cndmask_b32_e32 v2, 0xff800000, v21, vcc_lo
	v_cmp_eq_u32_e32 vcc_lo, 0, v30
	s_delay_alu instid0(VALU_DEP_2)
	v_cndmask_b32_e32 v2, 0x7f800001, v2, vcc_lo
; %bb.241:                              ;   in Loop: Header=BB4_130 Depth=3
	s_or_b32 exec_lo, exec_lo, s24
.LBB4_242:                              ;   in Loop: Header=BB4_130 Depth=3
	s_delay_alu instid0(SALU_CYCLE_1)
	s_or_b32 exec_lo, exec_lo, s23
.LBB4_243:                              ;   in Loop: Header=BB4_130 Depth=3
	s_delay_alu instid0(SALU_CYCLE_1) | instskip(NEXT) | instid1(SALU_CYCLE_1)
	s_or_b32 exec_lo, exec_lo, s22
	s_mov_b32 s22, exec_lo
	v_cmpx_ne_u16_e32 0, v44
	s_cbranch_execz .LBB4_253
; %bb.244:                              ;   in Loop: Header=BB4_130 Depth=3
	v_bfrev_b32_e32 v5, 1
	s_mov_b32 s23, exec_lo
	v_cmpx_ne_u16_e32 0x80, v44
	s_cbranch_execz .LBB4_252
; %bb.245:                              ;   in Loop: Header=BB4_130 Depth=3
	v_and_b32_e32 v30, 0xffff, v44
	s_delay_alu instid0(VALU_DEP_1) | instskip(SKIP_1) | instid1(VALU_DEP_2)
	v_and_b32_e32 v5, 0x7c, v30
	v_and_b32_e32 v17, 3, v30
	v_cmp_ne_u32_e32 vcc_lo, 0x7c, v5
                                        ; implicit-def: $vgpr5
	s_and_saveexec_b32 s24, vcc_lo
	s_delay_alu instid0(SALU_CYCLE_1)
	s_xor_b32 s24, exec_lo, s24
	s_cbranch_execz .LBB4_249
; %bb.246:                              ;   in Loop: Header=BB4_130 Depth=3
	v_bfe_u32 v5, v30, 2, 5
	s_mov_b32 s25, exec_lo
	s_delay_alu instid0(VALU_DEP_1)
	v_cmpx_eq_u32_e32 0, v5
	s_cbranch_execz .LBB4_248
; %bb.247:                              ;   in Loop: Header=BB4_130 Depth=3
	v_clz_i32_u32_e32 v5, v17
	s_delay_alu instid0(VALU_DEP_1) | instskip(SKIP_1) | instid1(VALU_DEP_2)
	v_min_u32_e32 v5, 32, v5
	v_mov_b32_e32 v45, v55
	v_subrev_nc_u32_e32 v17, 29, v5
	v_sub_nc_u32_e32 v5, 30, v5
	s_delay_alu instid0(VALU_DEP_2) | instskip(NEXT) | instid1(VALU_DEP_1)
	v_lshlrev_b64_e32 v[44:45], v17, v[44:45]
	v_and_b32_e32 v17, 3, v44
.LBB4_248:                              ;   in Loop: Header=BB4_130 Depth=3
	s_or_b32 exec_lo, exec_lo, s25
	v_lshlrev_b32_e32 v30, 16, v4
	s_delay_alu instid0(VALU_DEP_1) | instskip(NEXT) | instid1(VALU_DEP_1)
	v_and_b32_e32 v30, 0x80000000, v30
	v_lshl_add_u32 v5, v5, 23, v30
	s_delay_alu instid0(VALU_DEP_1) | instskip(NEXT) | instid1(VALU_DEP_1)
	v_lshl_or_b32 v5, v17, 21, v5
                                        ; implicit-def: $vgpr17
	v_add_nc_u32_e32 v5, 0x38000000, v5
.LBB4_249:                              ;   in Loop: Header=BB4_130 Depth=3
	s_and_not1_saveexec_b32 s24, s24
; %bb.250:                              ;   in Loop: Header=BB4_130 Depth=3
	v_cmp_lt_i16_e32 vcc_lo, -1, v4
	v_cndmask_b32_e32 v5, 0xff800000, v21, vcc_lo
	v_cmp_eq_u32_e32 vcc_lo, 0, v17
	s_delay_alu instid0(VALU_DEP_2)
	v_cndmask_b32_e32 v5, 0x7f800001, v5, vcc_lo
; %bb.251:                              ;   in Loop: Header=BB4_130 Depth=3
	s_or_b32 exec_lo, exec_lo, s24
.LBB4_252:                              ;   in Loop: Header=BB4_130 Depth=3
	s_delay_alu instid0(SALU_CYCLE_1)
	s_or_b32 exec_lo, exec_lo, s23
.LBB4_253:                              ;   in Loop: Header=BB4_130 Depth=3
	s_delay_alu instid0(SALU_CYCLE_1) | instskip(NEXT) | instid1(VALU_DEP_1)
	s_or_b32 exec_lo, exec_lo, s22
	v_dual_max_num_f32 v5, v5, v5 :: v_dual_max_num_f32 v2, v2, v2
	s_delay_alu instid0(VALU_DEP_1)
	v_min_num_f32_e32 v5, v2, v5
.LBB4_254:                              ;   in Loop: Header=BB4_130 Depth=3
	s_or_b32 exec_lo, exec_lo, s9
	s_delay_alu instid0(VALU_DEP_1) | instskip(SKIP_4) | instid1(VALU_DEP_3)
	v_and_b32_e32 v46, 0x7f800000, v5
	v_dual_mov_b32 v47, v55 :: v_dual_mov_b32 v45, v55
	v_and_b32_e32 v44, 0x7fffff, v5
	v_lshrrev_b32_e32 v2, 24, v5
                                        ; implicit-def: $vgpr74
	s_mov_b32 s9, exec_lo
	v_cmpx_ne_u64_e32 0x7f800000, v[46:47]
	s_xor_b32 s22, exec_lo, s9
	s_cbranch_execz .LBB4_268
; %bb.255:                              ;   in Loop: Header=BB4_130 Depth=3
	v_and_b32_e32 v46, 0x7fffffff, v5
	v_mov_b32_e32 v47, v55
	v_and_b32_e32 v2, 0x80, v2
                                        ; implicit-def: $vgpr74
	s_mov_b32 s9, exec_lo
	s_delay_alu instid0(VALU_DEP_2)
	v_cmpx_gt_u64_e32 0x47600001, v[46:47]
	s_xor_b32 s23, exec_lo, s9
	s_cbranch_execz .LBB4_265
; %bb.256:                              ;   in Loop: Header=BB4_130 Depth=3
	v_mov_b32_e32 v74, 0
	s_mov_b32 s24, exec_lo
	v_cmpx_ne_u32_e32 0, v5
	s_cbranch_execz .LBB4_264
; %bb.257:                              ;   in Loop: Header=BB4_130 Depth=3
	v_bfe_u32 v5, v5, 23, 8
	v_or_b32_e32 v74, 0x800000, v44
	s_delay_alu instid0(VALU_DEP_2) | instskip(SKIP_1) | instid1(VALU_DEP_2)
	v_sub_nc_u32_e32 v17, 0x71, v5
	v_cmp_gt_u32_e32 vcc_lo, 0x72, v5
	v_cndmask_b32_e32 v17, 0, v17, vcc_lo
	v_cmp_eq_u32_e32 vcc_lo, 0, v5
	s_delay_alu instid0(VALU_DEP_2) | instskip(NEXT) | instid1(VALU_DEP_1)
	v_cndmask_b32_e64 v17, v17, 0x70, vcc_lo
	v_dual_cndmask_b32 v44, v74, v44, vcc_lo :: v_dual_add_nc_u32 v30, 21, v17
	s_delay_alu instid0(VALU_DEP_1) | instskip(SKIP_1) | instid1(VALU_DEP_1)
	v_lshlrev_b64_e64 v[46:47], v30, -1
	v_add_nc_u32_e32 v30, 20, v17
	v_lshlrev_b64_e64 v[78:79], v30, 1
	s_delay_alu instid0(VALU_DEP_3) | instskip(SKIP_2) | instid1(VALU_DEP_1)
	v_bfi_b32 v46, v46, 0, v44
	v_lshrrev_b64 v[44:45], v17, v[44:45]
	v_bfi_b32 v47, v47, 0, 0
	v_cmp_eq_u64_e64 s9, v[46:47], v[78:79]
	s_delay_alu instid0(VALU_DEP_3)
	v_mov_b64_e32 v[46:47], v[44:45]
	s_and_saveexec_b32 s25, s9
; %bb.258:                              ;   in Loop: Header=BB4_130 Depth=3
	v_bfe_u32 v46, v44, 21, 1
	v_mov_b32_e32 v47, v55
	s_delay_alu instid0(VALU_DEP_1) | instskip(NEXT) | instid1(VALU_DEP_1)
	v_add_nc_u64_e32 v[46:47], v[44:45], v[46:47]
	v_add_nc_u64_e32 v[46:47], -1, v[46:47]
; %bb.259:                              ;   in Loop: Header=BB4_130 Depth=3
	s_or_b32 exec_lo, exec_lo, s25
	v_add_nc_u32_e32 v5, 0xffffff81, v5
	v_lshrrev_b32_e32 v30, 23, v44
	s_mov_b32 s9, exec_lo
	v_mov_b32_e32 v45, v55
	s_delay_alu instid0(VALU_DEP_3) | instskip(NEXT) | instid1(VALU_DEP_1)
	v_cndmask_b32_e64 v5, v5, 0xffffff82, vcc_lo
	v_add3_u32 v17, v17, v5, v30
	v_and_b32_e32 v5, 0x1fffff, v46
	s_delay_alu instid0(VALU_DEP_1) | instskip(NEXT) | instid1(VALU_DEP_1)
	v_dual_add_nc_u32 v30, 14, v17 :: v_dual_add_nc_u32 v44, v5, v44
                                        ; implicit-def: $vgpr5
	v_cmpx_ne_u32_e32 0, v30
	s_xor_b32 s9, exec_lo, s9
; %bb.260:                              ;   in Loop: Header=BB4_130 Depth=3
	s_delay_alu instid0(VALU_DEP_2) | instskip(SKIP_2) | instid1(VALU_DEP_2)
	v_cmp_lt_u64_e32 vcc_lo, 0xffffff, v[44:45]
	v_add_nc_u32_e32 v5, 15, v17
	v_cndmask_b32_e64 v17, 0, 1, vcc_lo
	v_cndmask_b32_e32 v5, v30, v5, vcc_lo
	s_delay_alu instid0(VALU_DEP_2)
	v_lshrrev_b64 v[44:45], v17, v[44:45]
; %bb.261:                              ;   in Loop: Header=BB4_130 Depth=3
	s_and_not1_saveexec_b32 s9, s9
; %bb.262:                              ;   in Loop: Header=BB4_130 Depth=3
	s_delay_alu instid0(VALU_DEP_1)
	v_bfe_u32 v5, v44, 23, 1
; %bb.263:                              ;   in Loop: Header=BB4_130 Depth=3
	s_or_b32 exec_lo, exec_lo, s9
	s_delay_alu instid0(VALU_DEP_2) | instskip(NEXT) | instid1(VALU_DEP_2)
	v_lshrrev_b64 v[44:45], 21, v[44:45]
	v_cmp_gt_i32_e32 vcc_lo, 32, v5
	v_min_i32_e32 v17, 31, v5
	v_cmp_eq_u32_e64 s9, 0, v5
	s_delay_alu instid0(VALU_DEP_2) | instskip(SKIP_1) | instid1(VALU_DEP_2)
	v_dual_cndmask_b32 v44, 3, v44 :: v_dual_lshlrev_b32 v17, 2, v17
	v_cndmask_b32_e32 v45, 0, v45, vcc_lo
	v_and_b32_e32 v17, 0xfc, v17
	s_delay_alu instid0(VALU_DEP_2) | instskip(NEXT) | instid1(VALU_DEP_2)
	v_cmp_eq_u64_e32 vcc_lo, 0, v[44:45]
	v_and_or_b32 v5, v44, 3, v17
	s_and_b32 s9, s9, vcc_lo
	s_delay_alu instid0(VALU_DEP_1) | instid1(SALU_CYCLE_1)
	v_cndmask_b32_e64 v5, v5, 0, s9
	s_delay_alu instid0(VALU_DEP_1)
	v_or_b32_e32 v74, v5, v2
.LBB4_264:                              ;   in Loop: Header=BB4_130 Depth=3
	s_or_b32 exec_lo, exec_lo, s24
                                        ; implicit-def: $vgpr2
.LBB4_265:                              ;   in Loop: Header=BB4_130 Depth=3
	s_and_not1_saveexec_b32 s9, s23
; %bb.266:                              ;   in Loop: Header=BB4_130 Depth=3
	v_or_b32_e32 v74, 0x7b, v2
; %bb.267:                              ;   in Loop: Header=BB4_130 Depth=3
	s_or_b32 exec_lo, exec_lo, s9
                                        ; implicit-def: $vgpr5
                                        ; implicit-def: $vgpr44_vgpr45
                                        ; implicit-def: $vgpr2
.LBB4_268:                              ;   in Loop: Header=BB4_130 Depth=3
	s_and_not1_saveexec_b32 s9, s22
	s_cbranch_execz .LBB4_274
; %bb.269:                              ;   in Loop: Header=BB4_130 Depth=3
	s_mov_b32 s22, exec_lo
                                        ; implicit-def: $vgpr74
	v_cmpx_ne_u64_e32 0, v[44:45]
	s_xor_b32 s22, exec_lo, s22
; %bb.270:                              ;   in Loop: Header=BB4_130 Depth=3
	v_or_b32_e32 v74, 0x7f, v2
                                        ; implicit-def: $vgpr5
; %bb.271:                              ;   in Loop: Header=BB4_130 Depth=3
	s_and_not1_saveexec_b32 s22, s22
; %bb.272:                              ;   in Loop: Header=BB4_130 Depth=3
	v_cmp_lt_i32_e32 vcc_lo, -1, v5
	v_cndmask_b32_e32 v74, 0xfc, v58, vcc_lo
; %bb.273:                              ;   in Loop: Header=BB4_130 Depth=3
	s_or_b32 exec_lo, exec_lo, s22
.LBB4_274:                              ;   in Loop: Header=BB4_130 Depth=3
	s_delay_alu instid0(SALU_CYCLE_1) | instskip(SKIP_2) | instid1(VALU_DEP_2)
	s_or_b32 exec_lo, exec_lo, s9
	v_lshrrev_b32_e32 v30, 16, v16
	v_lshrrev_b32_e32 v2, 16, v4
                                        ; implicit-def: $vgpr5
	v_and_b32_e32 v44, 0xff, v30
	s_delay_alu instid0(VALU_DEP_1) | instskip(SKIP_1) | instid1(SALU_CYCLE_1)
	v_cmp_ne_u16_e32 vcc_lo, 0, v44
	s_and_saveexec_b32 s9, s6
	s_xor_b32 s22, exec_lo, s9
	s_cbranch_execz .LBB4_296
; %bb.275:                              ;   in Loop: Header=BB4_130 Depth=3
	v_dual_mov_b32 v17, 0 :: v_dual_mov_b32 v5, 0
	s_and_saveexec_b32 s23, vcc_lo
	s_cbranch_execz .LBB4_285
; %bb.276:                              ;   in Loop: Header=BB4_130 Depth=3
	v_bfrev_b32_e32 v5, 1
	s_mov_b32 s24, exec_lo
	v_cmpx_ne_u16_e32 0x80, v44
	s_cbranch_execz .LBB4_284
; %bb.277:                              ;   in Loop: Header=BB4_130 Depth=3
	v_and_b32_e32 v5, 0x7c0000, v16
	v_bfe_u32 v44, v16, 16, 2
	s_delay_alu instid0(VALU_DEP_2) | instskip(SKIP_1) | instid1(SALU_CYCLE_1)
	v_cmp_ne_u32_e64 s9, 0x7c0000, v5
                                        ; implicit-def: $vgpr5
	s_and_saveexec_b32 s25, s9
	s_xor_b32 s25, exec_lo, s25
	s_cbranch_execz .LBB4_281
; %bb.278:                              ;   in Loop: Header=BB4_130 Depth=3
	v_bfe_u32 v5, v16, 18, 5
	s_mov_b32 s26, exec_lo
	s_delay_alu instid0(VALU_DEP_1)
	v_cmpx_eq_u32_e32 0, v5
; %bb.279:                              ;   in Loop: Header=BB4_130 Depth=3
	v_clz_i32_u32_e32 v5, v44
	s_delay_alu instid0(VALU_DEP_1) | instskip(NEXT) | instid1(VALU_DEP_1)
	v_min_u32_e32 v5, 32, v5
	v_subrev_nc_u32_e32 v44, 29, v5
	s_delay_alu instid0(VALU_DEP_1) | instskip(NEXT) | instid1(VALU_DEP_1)
	v_lshlrev_b64_e32 v[44:45], v44, v[30:31]
	v_dual_sub_nc_u32 v5, 30, v5 :: v_dual_bitop2_b32 v44, 3, v44 bitop3:0x40
; %bb.280:                              ;   in Loop: Header=BB4_130 Depth=3
	s_or_b32 exec_lo, exec_lo, s26
	v_lshlrev_b32_e32 v30, 24, v30
	s_delay_alu instid0(VALU_DEP_1) | instskip(NEXT) | instid1(VALU_DEP_1)
	v_and_b32_e32 v30, 0x80000000, v30
	v_lshl_add_u32 v5, v5, 23, v30
                                        ; implicit-def: $vgpr30
	s_delay_alu instid0(VALU_DEP_1) | instskip(NEXT) | instid1(VALU_DEP_1)
	v_lshl_or_b32 v5, v44, 21, v5
                                        ; implicit-def: $vgpr44
	v_add_nc_u32_e32 v5, 0x38000000, v5
.LBB4_281:                              ;   in Loop: Header=BB4_130 Depth=3
	s_and_not1_saveexec_b32 s25, s25
; %bb.282:                              ;   in Loop: Header=BB4_130 Depth=3
	v_bfe_i32 v5, v30, 0, 8
	s_delay_alu instid0(VALU_DEP_1) | instskip(NEXT) | instid1(VALU_DEP_1)
	v_cmp_lt_i16_e64 s9, -1, v5
	v_cndmask_b32_e64 v5, 0xff800000, v21, s9
	v_cmp_eq_u32_e64 s9, 0, v44
	s_delay_alu instid0(VALU_DEP_1)
	v_cndmask_b32_e64 v5, 0x7f800001, v5, s9
; %bb.283:                              ;   in Loop: Header=BB4_130 Depth=3
	s_or_b32 exec_lo, exec_lo, s25
.LBB4_284:                              ;   in Loop: Header=BB4_130 Depth=3
	s_delay_alu instid0(SALU_CYCLE_1)
	s_or_b32 exec_lo, exec_lo, s24
.LBB4_285:                              ;   in Loop: Header=BB4_130 Depth=3
	s_delay_alu instid0(SALU_CYCLE_1) | instskip(SKIP_2) | instid1(VALU_DEP_1)
	s_or_b32 exec_lo, exec_lo, s23
	v_lshrrev_b32_e32 v44, 16, v4
	s_mov_b32 s23, exec_lo
	v_and_b32_e32 v30, 0xff, v44
	s_delay_alu instid0(VALU_DEP_1)
	v_cmpx_ne_u16_e32 0, v30
	s_cbranch_execz .LBB4_295
; %bb.286:                              ;   in Loop: Header=BB4_130 Depth=3
	v_bfrev_b32_e32 v17, 1
	s_mov_b32 s24, exec_lo
	v_cmpx_ne_u16_e32 0x80, v30
	s_cbranch_execz .LBB4_294
; %bb.287:                              ;   in Loop: Header=BB4_130 Depth=3
	v_and_b32_e32 v17, 0x7c0000, v4
	v_bfe_u32 v30, v4, 16, 2
	s_delay_alu instid0(VALU_DEP_2) | instskip(SKIP_1) | instid1(SALU_CYCLE_1)
	v_cmp_ne_u32_e64 s9, 0x7c0000, v17
                                        ; implicit-def: $vgpr17
	s_and_saveexec_b32 s25, s9
	s_xor_b32 s25, exec_lo, s25
	s_cbranch_execz .LBB4_291
; %bb.288:                              ;   in Loop: Header=BB4_130 Depth=3
	v_bfe_u32 v17, v4, 18, 5
	s_mov_b32 s26, exec_lo
	s_delay_alu instid0(VALU_DEP_1)
	v_cmpx_eq_u32_e32 0, v17
; %bb.289:                              ;   in Loop: Header=BB4_130 Depth=3
	v_clz_i32_u32_e32 v17, v30
	s_delay_alu instid0(VALU_DEP_1) | instskip(NEXT) | instid1(VALU_DEP_1)
	v_min_u32_e32 v17, 32, v17
	v_subrev_nc_u32_e32 v30, 29, v17
	s_delay_alu instid0(VALU_DEP_1) | instskip(NEXT) | instid1(VALU_DEP_1)
	v_lshlrev_b64_e32 v[44:45], v30, v[2:3]
	v_dual_sub_nc_u32 v17, 30, v17 :: v_dual_bitop2_b32 v30, 3, v44 bitop3:0x40
; %bb.290:                              ;   in Loop: Header=BB4_130 Depth=3
	s_or_b32 exec_lo, exec_lo, s26
	v_lshlrev_b32_e32 v2, 24, v2
                                        ; implicit-def: $vgpr44
	s_delay_alu instid0(VALU_DEP_1) | instskip(NEXT) | instid1(VALU_DEP_1)
	v_and_b32_e32 v2, 0x80000000, v2
	v_lshl_add_u32 v2, v17, 23, v2
	s_delay_alu instid0(VALU_DEP_1) | instskip(NEXT) | instid1(VALU_DEP_1)
	v_lshl_or_b32 v2, v30, 21, v2
                                        ; implicit-def: $vgpr30
	v_add_nc_u32_e32 v17, 0x38000000, v2
.LBB4_291:                              ;   in Loop: Header=BB4_130 Depth=3
	s_and_not1_saveexec_b32 s25, s25
; %bb.292:                              ;   in Loop: Header=BB4_130 Depth=3
	v_bfe_i32 v2, v44, 0, 8
	s_delay_alu instid0(VALU_DEP_1) | instskip(NEXT) | instid1(VALU_DEP_1)
	v_cmp_lt_i16_e64 s9, -1, v2
	v_cndmask_b32_e64 v2, 0xff800000, v21, s9
	v_cmp_eq_u32_e64 s9, 0, v30
	s_delay_alu instid0(VALU_DEP_1)
	v_cndmask_b32_e64 v17, 0x7f800001, v2, s9
; %bb.293:                              ;   in Loop: Header=BB4_130 Depth=3
	s_or_b32 exec_lo, exec_lo, s25
.LBB4_294:                              ;   in Loop: Header=BB4_130 Depth=3
	s_delay_alu instid0(SALU_CYCLE_1)
	s_or_b32 exec_lo, exec_lo, s24
.LBB4_295:                              ;   in Loop: Header=BB4_130 Depth=3
	s_delay_alu instid0(SALU_CYCLE_1) | instskip(NEXT) | instid1(VALU_DEP_1)
	s_or_b32 exec_lo, exec_lo, s23
	v_max_num_f32_e32 v2, v17, v17
	v_max_num_f32_e32 v5, v5, v5
                                        ; implicit-def: $vgpr44
                                        ; implicit-def: $vgpr30
	s_delay_alu instid0(VALU_DEP_1)
	v_max_num_f32_e32 v5, v5, v2
                                        ; implicit-def: $vgpr2
.LBB4_296:                              ;   in Loop: Header=BB4_130 Depth=3
	s_and_not1_saveexec_b32 s9, s22
	s_cbranch_execz .LBB4_318
; %bb.297:                              ;   in Loop: Header=BB4_130 Depth=3
	v_dual_mov_b32 v17, 0 :: v_dual_mov_b32 v5, 0
	s_and_saveexec_b32 s22, vcc_lo
	s_cbranch_execz .LBB4_307
; %bb.298:                              ;   in Loop: Header=BB4_130 Depth=3
	v_bfrev_b32_e32 v5, 1
	s_mov_b32 s23, exec_lo
	v_cmpx_ne_u16_e32 0x80, v44
	s_cbranch_execz .LBB4_306
; %bb.299:                              ;   in Loop: Header=BB4_130 Depth=3
	v_and_b32_e32 v5, 0x7c0000, v16
	v_bfe_u32 v44, v16, 16, 2
	s_delay_alu instid0(VALU_DEP_2) | instskip(SKIP_1) | instid1(SALU_CYCLE_1)
	v_cmp_ne_u32_e32 vcc_lo, 0x7c0000, v5
                                        ; implicit-def: $vgpr5
	s_and_saveexec_b32 s24, vcc_lo
	s_xor_b32 s24, exec_lo, s24
	s_cbranch_execz .LBB4_303
; %bb.300:                              ;   in Loop: Header=BB4_130 Depth=3
	v_bfe_u32 v5, v16, 18, 5
	s_mov_b32 s25, exec_lo
	s_delay_alu instid0(VALU_DEP_1)
	v_cmpx_eq_u32_e32 0, v5
; %bb.301:                              ;   in Loop: Header=BB4_130 Depth=3
	v_clz_i32_u32_e32 v5, v44
	s_delay_alu instid0(VALU_DEP_1) | instskip(NEXT) | instid1(VALU_DEP_1)
	v_min_u32_e32 v5, 32, v5
	v_subrev_nc_u32_e32 v44, 29, v5
	s_delay_alu instid0(VALU_DEP_1) | instskip(NEXT) | instid1(VALU_DEP_1)
	v_lshlrev_b64_e32 v[44:45], v44, v[30:31]
	v_dual_sub_nc_u32 v5, 30, v5 :: v_dual_bitop2_b32 v44, 3, v44 bitop3:0x40
; %bb.302:                              ;   in Loop: Header=BB4_130 Depth=3
	s_or_b32 exec_lo, exec_lo, s25
	v_lshlrev_b32_e32 v30, 24, v30
	s_delay_alu instid0(VALU_DEP_1) | instskip(NEXT) | instid1(VALU_DEP_1)
	v_and_b32_e32 v30, 0x80000000, v30
	v_lshl_add_u32 v5, v5, 23, v30
                                        ; implicit-def: $vgpr30
	s_delay_alu instid0(VALU_DEP_1) | instskip(NEXT) | instid1(VALU_DEP_1)
	v_lshl_or_b32 v5, v44, 21, v5
                                        ; implicit-def: $vgpr44
	v_add_nc_u32_e32 v5, 0x38000000, v5
.LBB4_303:                              ;   in Loop: Header=BB4_130 Depth=3
	s_and_not1_saveexec_b32 s24, s24
; %bb.304:                              ;   in Loop: Header=BB4_130 Depth=3
	v_bfe_i32 v5, v30, 0, 8
	s_delay_alu instid0(VALU_DEP_1) | instskip(SKIP_2) | instid1(VALU_DEP_2)
	v_cmp_lt_i16_e32 vcc_lo, -1, v5
	v_cndmask_b32_e32 v5, 0xff800000, v21, vcc_lo
	v_cmp_eq_u32_e32 vcc_lo, 0, v44
	v_cndmask_b32_e32 v5, 0x7f800001, v5, vcc_lo
; %bb.305:                              ;   in Loop: Header=BB4_130 Depth=3
	s_or_b32 exec_lo, exec_lo, s24
.LBB4_306:                              ;   in Loop: Header=BB4_130 Depth=3
	s_delay_alu instid0(SALU_CYCLE_1)
	s_or_b32 exec_lo, exec_lo, s23
.LBB4_307:                              ;   in Loop: Header=BB4_130 Depth=3
	s_delay_alu instid0(SALU_CYCLE_1) | instskip(SKIP_2) | instid1(VALU_DEP_1)
	s_or_b32 exec_lo, exec_lo, s22
	v_lshrrev_b32_e32 v44, 16, v4
	s_mov_b32 s22, exec_lo
	v_and_b32_e32 v30, 0xff, v44
	s_delay_alu instid0(VALU_DEP_1)
	v_cmpx_ne_u16_e32 0, v30
	s_cbranch_execz .LBB4_317
; %bb.308:                              ;   in Loop: Header=BB4_130 Depth=3
	v_bfrev_b32_e32 v17, 1
	s_mov_b32 s23, exec_lo
	v_cmpx_ne_u16_e32 0x80, v30
	s_cbranch_execz .LBB4_316
; %bb.309:                              ;   in Loop: Header=BB4_130 Depth=3
	v_and_b32_e32 v17, 0x7c0000, v4
	v_bfe_u32 v30, v4, 16, 2
	s_delay_alu instid0(VALU_DEP_2) | instskip(SKIP_1) | instid1(SALU_CYCLE_1)
	v_cmp_ne_u32_e32 vcc_lo, 0x7c0000, v17
                                        ; implicit-def: $vgpr17
	s_and_saveexec_b32 s24, vcc_lo
	s_xor_b32 s24, exec_lo, s24
	s_cbranch_execz .LBB4_313
; %bb.310:                              ;   in Loop: Header=BB4_130 Depth=3
	v_bfe_u32 v17, v4, 18, 5
	s_mov_b32 s25, exec_lo
	s_delay_alu instid0(VALU_DEP_1)
	v_cmpx_eq_u32_e32 0, v17
; %bb.311:                              ;   in Loop: Header=BB4_130 Depth=3
	v_clz_i32_u32_e32 v17, v30
	s_delay_alu instid0(VALU_DEP_1) | instskip(NEXT) | instid1(VALU_DEP_1)
	v_min_u32_e32 v17, 32, v17
	v_subrev_nc_u32_e32 v30, 29, v17
	s_delay_alu instid0(VALU_DEP_1) | instskip(NEXT) | instid1(VALU_DEP_1)
	v_lshlrev_b64_e32 v[44:45], v30, v[2:3]
	v_dual_sub_nc_u32 v17, 30, v17 :: v_dual_bitop2_b32 v30, 3, v44 bitop3:0x40
; %bb.312:                              ;   in Loop: Header=BB4_130 Depth=3
	s_or_b32 exec_lo, exec_lo, s25
	v_lshlrev_b32_e32 v2, 24, v2
                                        ; implicit-def: $vgpr44
	s_delay_alu instid0(VALU_DEP_1) | instskip(NEXT) | instid1(VALU_DEP_1)
	v_and_b32_e32 v2, 0x80000000, v2
	v_lshl_add_u32 v2, v17, 23, v2
	s_delay_alu instid0(VALU_DEP_1) | instskip(NEXT) | instid1(VALU_DEP_1)
	v_lshl_or_b32 v2, v30, 21, v2
                                        ; implicit-def: $vgpr30
	v_add_nc_u32_e32 v17, 0x38000000, v2
.LBB4_313:                              ;   in Loop: Header=BB4_130 Depth=3
	s_and_not1_saveexec_b32 s24, s24
; %bb.314:                              ;   in Loop: Header=BB4_130 Depth=3
	v_bfe_i32 v2, v44, 0, 8
	s_delay_alu instid0(VALU_DEP_1) | instskip(SKIP_2) | instid1(VALU_DEP_2)
	v_cmp_lt_i16_e32 vcc_lo, -1, v2
	v_cndmask_b32_e32 v2, 0xff800000, v21, vcc_lo
	v_cmp_eq_u32_e32 vcc_lo, 0, v30
	v_cndmask_b32_e32 v17, 0x7f800001, v2, vcc_lo
; %bb.315:                              ;   in Loop: Header=BB4_130 Depth=3
	s_or_b32 exec_lo, exec_lo, s24
.LBB4_316:                              ;   in Loop: Header=BB4_130 Depth=3
	s_delay_alu instid0(SALU_CYCLE_1)
	s_or_b32 exec_lo, exec_lo, s23
.LBB4_317:                              ;   in Loop: Header=BB4_130 Depth=3
	s_delay_alu instid0(SALU_CYCLE_1) | instskip(NEXT) | instid1(VALU_DEP_1)
	s_or_b32 exec_lo, exec_lo, s22
	v_max_num_f32_e32 v2, v17, v17
	v_max_num_f32_e32 v5, v5, v5
	s_delay_alu instid0(VALU_DEP_1)
	v_min_num_f32_e32 v5, v5, v2
.LBB4_318:                              ;   in Loop: Header=BB4_130 Depth=3
	s_or_b32 exec_lo, exec_lo, s9
	s_delay_alu instid0(VALU_DEP_1) | instskip(SKIP_3) | instid1(VALU_DEP_3)
	v_and_b32_e32 v46, 0x7f800000, v5
	v_dual_mov_b32 v47, v55 :: v_dual_mov_b32 v45, v55
	v_and_b32_e32 v44, 0x7fffff, v5
	v_lshrrev_b32_e32 v2, 24, v5
	v_cmp_ne_u64_e32 vcc_lo, 0x7f800000, v[46:47]
                                        ; implicit-def: $vgpr46
	s_and_saveexec_b32 s9, vcc_lo
	s_delay_alu instid0(SALU_CYCLE_1)
	s_xor_b32 s22, exec_lo, s9
	s_cbranch_execz .LBB4_332
; %bb.319:                              ;   in Loop: Header=BB4_130 Depth=3
	v_and_b32_e32 v46, 0x7fffffff, v5
	v_mov_b32_e32 v47, v55
	v_and_b32_e32 v2, 0x80, v2
	s_delay_alu instid0(VALU_DEP_2) | instskip(SKIP_1) | instid1(SALU_CYCLE_1)
	v_cmp_gt_u64_e32 vcc_lo, 0x47600001, v[46:47]
                                        ; implicit-def: $vgpr46
	s_and_saveexec_b32 s9, vcc_lo
	s_xor_b32 s23, exec_lo, s9
	s_cbranch_execz .LBB4_329
; %bb.320:                              ;   in Loop: Header=BB4_130 Depth=3
	v_mov_b32_e32 v46, 0
	s_mov_b32 s24, exec_lo
	v_cmpx_ne_u32_e32 0, v5
	s_cbranch_execz .LBB4_328
; %bb.321:                              ;   in Loop: Header=BB4_130 Depth=3
	v_bfe_u32 v5, v5, 23, 8
	v_or_b32_e32 v78, 0x800000, v44
	s_delay_alu instid0(VALU_DEP_2) | instskip(SKIP_1) | instid1(VALU_DEP_2)
	v_sub_nc_u32_e32 v17, 0x71, v5
	v_cmp_gt_u32_e32 vcc_lo, 0x72, v5
	v_cndmask_b32_e32 v17, 0, v17, vcc_lo
	v_cmp_eq_u32_e32 vcc_lo, 0, v5
	s_delay_alu instid0(VALU_DEP_2) | instskip(NEXT) | instid1(VALU_DEP_1)
	v_cndmask_b32_e64 v17, v17, 0x70, vcc_lo
	v_dual_cndmask_b32 v44, v78, v44, vcc_lo :: v_dual_add_nc_u32 v30, 21, v17
	s_delay_alu instid0(VALU_DEP_1) | instskip(SKIP_1) | instid1(VALU_DEP_1)
	v_lshlrev_b64_e64 v[46:47], v30, -1
	v_add_nc_u32_e32 v30, 20, v17
	v_lshlrev_b64_e64 v[78:79], v30, 1
	s_delay_alu instid0(VALU_DEP_3) | instskip(SKIP_2) | instid1(VALU_DEP_1)
	v_bfi_b32 v46, v46, 0, v44
	v_lshrrev_b64 v[44:45], v17, v[44:45]
	v_bfi_b32 v47, v47, 0, 0
	v_cmp_eq_u64_e64 s9, v[46:47], v[78:79]
	s_delay_alu instid0(VALU_DEP_3)
	v_mov_b64_e32 v[46:47], v[44:45]
	s_and_saveexec_b32 s25, s9
; %bb.322:                              ;   in Loop: Header=BB4_130 Depth=3
	v_bfe_u32 v46, v44, 21, 1
	v_mov_b32_e32 v47, v55
	s_delay_alu instid0(VALU_DEP_1) | instskip(NEXT) | instid1(VALU_DEP_1)
	v_add_nc_u64_e32 v[46:47], v[44:45], v[46:47]
	v_add_nc_u64_e32 v[46:47], -1, v[46:47]
; %bb.323:                              ;   in Loop: Header=BB4_130 Depth=3
	s_or_b32 exec_lo, exec_lo, s25
	v_add_nc_u32_e32 v5, 0xffffff81, v5
	v_lshrrev_b32_e32 v30, 23, v44
	s_mov_b32 s9, exec_lo
	v_mov_b32_e32 v45, v55
	s_delay_alu instid0(VALU_DEP_3) | instskip(NEXT) | instid1(VALU_DEP_1)
	v_cndmask_b32_e64 v5, v5, 0xffffff82, vcc_lo
	v_add3_u32 v17, v17, v5, v30
	v_and_b32_e32 v5, 0x1fffff, v46
	s_delay_alu instid0(VALU_DEP_1) | instskip(NEXT) | instid1(VALU_DEP_1)
	v_dual_add_nc_u32 v30, 14, v17 :: v_dual_add_nc_u32 v44, v5, v44
                                        ; implicit-def: $vgpr5
	v_cmpx_ne_u32_e32 0, v30
	s_xor_b32 s9, exec_lo, s9
; %bb.324:                              ;   in Loop: Header=BB4_130 Depth=3
	s_delay_alu instid0(VALU_DEP_2) | instskip(SKIP_2) | instid1(VALU_DEP_2)
	v_cmp_lt_u64_e32 vcc_lo, 0xffffff, v[44:45]
	v_add_nc_u32_e32 v5, 15, v17
	v_cndmask_b32_e64 v17, 0, 1, vcc_lo
	v_cndmask_b32_e32 v5, v30, v5, vcc_lo
	s_delay_alu instid0(VALU_DEP_2)
	v_lshrrev_b64 v[44:45], v17, v[44:45]
; %bb.325:                              ;   in Loop: Header=BB4_130 Depth=3
	s_and_not1_saveexec_b32 s9, s9
; %bb.326:                              ;   in Loop: Header=BB4_130 Depth=3
	s_delay_alu instid0(VALU_DEP_1)
	v_bfe_u32 v5, v44, 23, 1
; %bb.327:                              ;   in Loop: Header=BB4_130 Depth=3
	s_or_b32 exec_lo, exec_lo, s9
	s_delay_alu instid0(VALU_DEP_2) | instskip(NEXT) | instid1(VALU_DEP_2)
	v_lshrrev_b64 v[44:45], 21, v[44:45]
	v_cmp_gt_i32_e32 vcc_lo, 32, v5
	v_min_i32_e32 v17, 31, v5
	v_cmp_eq_u32_e64 s9, 0, v5
	s_delay_alu instid0(VALU_DEP_2) | instskip(SKIP_1) | instid1(VALU_DEP_2)
	v_dual_cndmask_b32 v44, 3, v44 :: v_dual_lshlrev_b32 v17, 2, v17
	v_cndmask_b32_e32 v45, 0, v45, vcc_lo
	v_and_b32_e32 v17, 0xfc, v17
	s_delay_alu instid0(VALU_DEP_2) | instskip(NEXT) | instid1(VALU_DEP_2)
	v_cmp_eq_u64_e32 vcc_lo, 0, v[44:45]
	v_and_or_b32 v5, v44, 3, v17
	s_and_b32 s9, s9, vcc_lo
	s_delay_alu instid0(VALU_DEP_1) | instid1(SALU_CYCLE_1)
	v_cndmask_b32_e64 v5, v5, 0, s9
	s_delay_alu instid0(VALU_DEP_1)
	v_or_b32_e32 v46, v5, v2
.LBB4_328:                              ;   in Loop: Header=BB4_130 Depth=3
	s_or_b32 exec_lo, exec_lo, s24
                                        ; implicit-def: $vgpr2
.LBB4_329:                              ;   in Loop: Header=BB4_130 Depth=3
	s_and_not1_saveexec_b32 s9, s23
; %bb.330:                              ;   in Loop: Header=BB4_130 Depth=3
	v_or_b32_e32 v46, 0x7b, v2
; %bb.331:                              ;   in Loop: Header=BB4_130 Depth=3
	s_or_b32 exec_lo, exec_lo, s9
                                        ; implicit-def: $vgpr5
                                        ; implicit-def: $vgpr44_vgpr45
                                        ; implicit-def: $vgpr2
.LBB4_332:                              ;   in Loop: Header=BB4_130 Depth=3
	s_and_not1_saveexec_b32 s9, s22
	s_cbranch_execz .LBB4_338
; %bb.333:                              ;   in Loop: Header=BB4_130 Depth=3
	s_mov_b32 s22, exec_lo
                                        ; implicit-def: $vgpr46
	v_cmpx_ne_u64_e32 0, v[44:45]
	s_xor_b32 s22, exec_lo, s22
; %bb.334:                              ;   in Loop: Header=BB4_130 Depth=3
	v_or_b32_e32 v46, 0x7f, v2
                                        ; implicit-def: $vgpr5
; %bb.335:                              ;   in Loop: Header=BB4_130 Depth=3
	s_and_not1_saveexec_b32 s22, s22
; %bb.336:                              ;   in Loop: Header=BB4_130 Depth=3
	v_cmp_lt_i32_e32 vcc_lo, -1, v5
	v_cndmask_b32_e32 v46, 0xfc, v58, vcc_lo
; %bb.337:                              ;   in Loop: Header=BB4_130 Depth=3
	s_or_b32 exec_lo, exec_lo, s22
.LBB4_338:                              ;   in Loop: Header=BB4_130 Depth=3
	s_delay_alu instid0(SALU_CYCLE_1) | instskip(SKIP_4) | instid1(SALU_CYCLE_1)
	s_or_b32 exec_lo, exec_lo, s9
	v_lshrrev_b32_e32 v30, 24, v16
	v_lshrrev_b32_e32 v2, 24, v4
	v_cmp_lt_u32_e32 vcc_lo, 0xffffff, v16
                                        ; implicit-def: $vgpr17
	s_and_saveexec_b32 s9, s6
	s_xor_b32 s22, exec_lo, s9
	s_cbranch_execz .LBB4_360
; %bb.339:                              ;   in Loop: Header=BB4_130 Depth=3
	v_dual_mov_b32 v44, 0 :: v_dual_mov_b32 v17, 0
	s_and_saveexec_b32 s23, vcc_lo
	s_cbranch_execz .LBB4_349
; %bb.340:                              ;   in Loop: Header=BB4_130 Depth=3
	v_bfrev_b32_e32 v17, 1
	s_mov_b32 s24, exec_lo
	v_cmpx_ne_u32_e32 0x80, v30
	s_cbranch_execz .LBB4_348
; %bb.341:                              ;   in Loop: Header=BB4_130 Depth=3
	v_and_b32_e32 v17, 0x7c000000, v16
	v_bfe_u32 v5, v16, 24, 2
	s_delay_alu instid0(VALU_DEP_2) | instskip(SKIP_1) | instid1(SALU_CYCLE_1)
	v_cmp_ne_u32_e64 s9, 0x7c000000, v17
                                        ; implicit-def: $vgpr17
	s_and_saveexec_b32 s25, s9
	s_xor_b32 s25, exec_lo, s25
	s_cbranch_execz .LBB4_345
; %bb.342:                              ;   in Loop: Header=BB4_130 Depth=3
	v_bfe_u32 v17, v16, 26, 5
	s_mov_b32 s26, exec_lo
	s_delay_alu instid0(VALU_DEP_1)
	v_cmpx_eq_u32_e32 0, v17
; %bb.343:                              ;   in Loop: Header=BB4_130 Depth=3
	v_clz_i32_u32_e32 v5, v5
	s_delay_alu instid0(VALU_DEP_1) | instskip(NEXT) | instid1(VALU_DEP_1)
	v_min_u32_e32 v5, 32, v5
	v_subrev_nc_u32_e32 v17, 29, v5
	s_delay_alu instid0(VALU_DEP_1) | instskip(NEXT) | instid1(VALU_DEP_1)
	v_lshlrev_b64_e32 v[78:79], v17, v[30:31]
	v_dual_sub_nc_u32 v17, 30, v5 :: v_dual_bitop2_b32 v5, 3, v78 bitop3:0x40
; %bb.344:                              ;   in Loop: Header=BB4_130 Depth=3
	s_or_b32 exec_lo, exec_lo, s26
	v_and_b32_e32 v16, 0x80000000, v16
	s_delay_alu instid0(VALU_DEP_1) | instskip(NEXT) | instid1(VALU_DEP_1)
	v_lshl_add_u32 v16, v17, 23, v16
	v_lshl_or_b32 v5, v5, 21, v16
	s_delay_alu instid0(VALU_DEP_1)
	v_add_nc_u32_e32 v17, 0x38000000, v5
                                        ; implicit-def: $vgpr5
.LBB4_345:                              ;   in Loop: Header=BB4_130 Depth=3
	s_and_not1_saveexec_b32 s25, s25
; %bb.346:                              ;   in Loop: Header=BB4_130 Depth=3
	v_cmp_lt_i32_e64 s9, -1, v16
	s_delay_alu instid0(VALU_DEP_1) | instskip(SKIP_1) | instid1(VALU_DEP_1)
	v_cndmask_b32_e64 v16, 0xff800000, v21, s9
	v_cmp_eq_u32_e64 s9, 0, v5
	v_cndmask_b32_e64 v17, 0x7f800001, v16, s9
; %bb.347:                              ;   in Loop: Header=BB4_130 Depth=3
	s_or_b32 exec_lo, exec_lo, s25
.LBB4_348:                              ;   in Loop: Header=BB4_130 Depth=3
	s_delay_alu instid0(SALU_CYCLE_1)
	s_or_b32 exec_lo, exec_lo, s24
.LBB4_349:                              ;   in Loop: Header=BB4_130 Depth=3
	s_delay_alu instid0(SALU_CYCLE_1) | instskip(NEXT) | instid1(SALU_CYCLE_1)
	s_or_b32 exec_lo, exec_lo, s23
	s_mov_b32 s23, exec_lo
	v_cmpx_lt_u32_e32 0xffffff, v4
	s_cbranch_execz .LBB4_359
; %bb.350:                              ;   in Loop: Header=BB4_130 Depth=3
	v_bfrev_b32_e32 v44, 1
	s_mov_b32 s24, exec_lo
	v_cmpx_ne_u32_e32 0x80, v2
	s_cbranch_execz .LBB4_358
; %bb.351:                              ;   in Loop: Header=BB4_130 Depth=3
	v_and_b32_e32 v5, 0x7c000000, v4
	v_bfe_u32 v16, v4, 24, 2
	s_mov_b32 s25, exec_lo
                                        ; implicit-def: $vgpr44
	s_delay_alu instid0(VALU_DEP_2)
	v_cmpx_ne_u32_e32 0x7c000000, v5
	s_xor_b32 s25, exec_lo, s25
	s_cbranch_execz .LBB4_355
; %bb.352:                              ;   in Loop: Header=BB4_130 Depth=3
	v_bfe_u32 v5, v4, 26, 5
	s_mov_b32 s26, exec_lo
	s_delay_alu instid0(VALU_DEP_1)
	v_cmpx_eq_u32_e32 0, v5
; %bb.353:                              ;   in Loop: Header=BB4_130 Depth=3
	v_clz_i32_u32_e32 v5, v16
	s_delay_alu instid0(VALU_DEP_1) | instskip(NEXT) | instid1(VALU_DEP_1)
	v_min_u32_e32 v5, 32, v5
	v_subrev_nc_u32_e32 v16, 29, v5
	s_delay_alu instid0(VALU_DEP_1) | instskip(NEXT) | instid1(VALU_DEP_1)
	v_lshlrev_b64_e32 v[44:45], v16, v[2:3]
	v_dual_sub_nc_u32 v5, 30, v5 :: v_dual_bitop2_b32 v16, 3, v44 bitop3:0x40
; %bb.354:                              ;   in Loop: Header=BB4_130 Depth=3
	s_or_b32 exec_lo, exec_lo, s26
	v_and_b32_e32 v2, 0x80000000, v4
	s_delay_alu instid0(VALU_DEP_1) | instskip(NEXT) | instid1(VALU_DEP_1)
	v_lshl_add_u32 v2, v5, 23, v2
                                        ; implicit-def: $vgpr4_vgpr5
	v_lshl_or_b32 v2, v16, 21, v2
                                        ; implicit-def: $vgpr16
	s_delay_alu instid0(VALU_DEP_1)
	v_add_nc_u32_e32 v44, 0x38000000, v2
.LBB4_355:                              ;   in Loop: Header=BB4_130 Depth=3
	s_and_not1_saveexec_b32 s25, s25
; %bb.356:                              ;   in Loop: Header=BB4_130 Depth=3
	v_cmp_lt_i32_e64 s9, -1, v4
	s_delay_alu instid0(VALU_DEP_1) | instskip(SKIP_1) | instid1(VALU_DEP_1)
	v_cndmask_b32_e64 v2, 0xff800000, v21, s9
	v_cmp_eq_u32_e64 s9, 0, v16
	v_cndmask_b32_e64 v44, 0x7f800001, v2, s9
; %bb.357:                              ;   in Loop: Header=BB4_130 Depth=3
	s_or_b32 exec_lo, exec_lo, s25
.LBB4_358:                              ;   in Loop: Header=BB4_130 Depth=3
	s_delay_alu instid0(SALU_CYCLE_1)
	s_or_b32 exec_lo, exec_lo, s24
.LBB4_359:                              ;   in Loop: Header=BB4_130 Depth=3
	s_delay_alu instid0(SALU_CYCLE_1) | instskip(NEXT) | instid1(VALU_DEP_1)
	s_or_b32 exec_lo, exec_lo, s23
	v_dual_max_num_f32 v2, v44, v44 :: v_dual_max_num_f32 v4, v17, v17
                                        ; implicit-def: $vgpr30
	s_delay_alu instid0(VALU_DEP_1)
	v_max_num_f32_e32 v17, v4, v2
                                        ; implicit-def: $vgpr4_vgpr5
                                        ; implicit-def: $vgpr2
.LBB4_360:                              ;   in Loop: Header=BB4_130 Depth=3
	s_and_not1_saveexec_b32 s9, s22
	s_cbranch_execz .LBB4_382
; %bb.361:                              ;   in Loop: Header=BB4_130 Depth=3
	v_dual_mov_b32 v44, 0 :: v_dual_mov_b32 v17, 0
	s_and_saveexec_b32 s22, vcc_lo
	s_cbranch_execz .LBB4_371
; %bb.362:                              ;   in Loop: Header=BB4_130 Depth=3
	v_bfrev_b32_e32 v17, 1
	s_mov_b32 s23, exec_lo
	v_cmpx_ne_u32_e32 0x80, v30
	s_cbranch_execz .LBB4_370
; %bb.363:                              ;   in Loop: Header=BB4_130 Depth=3
	v_and_b32_e32 v17, 0x7c000000, v16
	v_bfe_u32 v5, v16, 24, 2
	s_delay_alu instid0(VALU_DEP_2) | instskip(SKIP_1) | instid1(SALU_CYCLE_1)
	v_cmp_ne_u32_e32 vcc_lo, 0x7c000000, v17
                                        ; implicit-def: $vgpr17
	s_and_saveexec_b32 s24, vcc_lo
	s_xor_b32 s24, exec_lo, s24
	s_cbranch_execz .LBB4_367
; %bb.364:                              ;   in Loop: Header=BB4_130 Depth=3
	v_bfe_u32 v17, v16, 26, 5
	s_mov_b32 s25, exec_lo
	s_delay_alu instid0(VALU_DEP_1)
	v_cmpx_eq_u32_e32 0, v17
; %bb.365:                              ;   in Loop: Header=BB4_130 Depth=3
	v_clz_i32_u32_e32 v5, v5
	s_delay_alu instid0(VALU_DEP_1) | instskip(NEXT) | instid1(VALU_DEP_1)
	v_min_u32_e32 v5, 32, v5
	v_subrev_nc_u32_e32 v17, 29, v5
	s_delay_alu instid0(VALU_DEP_1) | instskip(NEXT) | instid1(VALU_DEP_1)
	v_lshlrev_b64_e32 v[78:79], v17, v[30:31]
	v_dual_sub_nc_u32 v17, 30, v5 :: v_dual_bitop2_b32 v5, 3, v78 bitop3:0x40
; %bb.366:                              ;   in Loop: Header=BB4_130 Depth=3
	s_or_b32 exec_lo, exec_lo, s25
	v_and_b32_e32 v16, 0x80000000, v16
	s_delay_alu instid0(VALU_DEP_1) | instskip(NEXT) | instid1(VALU_DEP_1)
	v_lshl_add_u32 v16, v17, 23, v16
	v_lshl_or_b32 v5, v5, 21, v16
	s_delay_alu instid0(VALU_DEP_1)
	v_add_nc_u32_e32 v17, 0x38000000, v5
                                        ; implicit-def: $vgpr5
.LBB4_367:                              ;   in Loop: Header=BB4_130 Depth=3
	s_and_not1_saveexec_b32 s24, s24
; %bb.368:                              ;   in Loop: Header=BB4_130 Depth=3
	v_cmp_lt_i32_e32 vcc_lo, -1, v16
	v_cndmask_b32_e32 v16, 0xff800000, v21, vcc_lo
	v_cmp_eq_u32_e32 vcc_lo, 0, v5
	s_delay_alu instid0(VALU_DEP_2)
	v_cndmask_b32_e32 v17, 0x7f800001, v16, vcc_lo
; %bb.369:                              ;   in Loop: Header=BB4_130 Depth=3
	s_or_b32 exec_lo, exec_lo, s24
.LBB4_370:                              ;   in Loop: Header=BB4_130 Depth=3
	s_delay_alu instid0(SALU_CYCLE_1)
	s_or_b32 exec_lo, exec_lo, s23
.LBB4_371:                              ;   in Loop: Header=BB4_130 Depth=3
	s_delay_alu instid0(SALU_CYCLE_1) | instskip(NEXT) | instid1(SALU_CYCLE_1)
	s_or_b32 exec_lo, exec_lo, s22
	s_mov_b32 s22, exec_lo
	v_cmpx_lt_u32_e32 0xffffff, v4
	s_cbranch_execz .LBB4_381
; %bb.372:                              ;   in Loop: Header=BB4_130 Depth=3
	v_bfrev_b32_e32 v44, 1
	s_mov_b32 s23, exec_lo
	v_cmpx_ne_u32_e32 0x80, v2
	s_cbranch_execz .LBB4_380
; %bb.373:                              ;   in Loop: Header=BB4_130 Depth=3
	v_and_b32_e32 v5, 0x7c000000, v4
	v_bfe_u32 v16, v4, 24, 2
	s_mov_b32 s24, exec_lo
                                        ; implicit-def: $vgpr44
	s_delay_alu instid0(VALU_DEP_2)
	v_cmpx_ne_u32_e32 0x7c000000, v5
	s_xor_b32 s24, exec_lo, s24
	s_cbranch_execz .LBB4_377
; %bb.374:                              ;   in Loop: Header=BB4_130 Depth=3
	v_bfe_u32 v5, v4, 26, 5
	s_mov_b32 s25, exec_lo
	s_delay_alu instid0(VALU_DEP_1)
	v_cmpx_eq_u32_e32 0, v5
; %bb.375:                              ;   in Loop: Header=BB4_130 Depth=3
	v_clz_i32_u32_e32 v5, v16
	s_delay_alu instid0(VALU_DEP_1) | instskip(NEXT) | instid1(VALU_DEP_1)
	v_min_u32_e32 v5, 32, v5
	v_subrev_nc_u32_e32 v16, 29, v5
	s_delay_alu instid0(VALU_DEP_1) | instskip(NEXT) | instid1(VALU_DEP_1)
	v_lshlrev_b64_e32 v[44:45], v16, v[2:3]
	v_dual_sub_nc_u32 v5, 30, v5 :: v_dual_bitop2_b32 v16, 3, v44 bitop3:0x40
; %bb.376:                              ;   in Loop: Header=BB4_130 Depth=3
	s_or_b32 exec_lo, exec_lo, s25
	v_and_b32_e32 v2, 0x80000000, v4
	s_delay_alu instid0(VALU_DEP_1) | instskip(NEXT) | instid1(VALU_DEP_1)
	v_lshl_add_u32 v2, v5, 23, v2
                                        ; implicit-def: $vgpr4_vgpr5
	v_lshl_or_b32 v2, v16, 21, v2
                                        ; implicit-def: $vgpr16
	s_delay_alu instid0(VALU_DEP_1)
	v_add_nc_u32_e32 v44, 0x38000000, v2
.LBB4_377:                              ;   in Loop: Header=BB4_130 Depth=3
	s_and_not1_saveexec_b32 s24, s24
; %bb.378:                              ;   in Loop: Header=BB4_130 Depth=3
	v_cmp_lt_i32_e32 vcc_lo, -1, v4
	v_cndmask_b32_e32 v2, 0xff800000, v21, vcc_lo
	v_cmp_eq_u32_e32 vcc_lo, 0, v16
	s_delay_alu instid0(VALU_DEP_2)
	v_cndmask_b32_e32 v44, 0x7f800001, v2, vcc_lo
; %bb.379:                              ;   in Loop: Header=BB4_130 Depth=3
	s_or_b32 exec_lo, exec_lo, s24
.LBB4_380:                              ;   in Loop: Header=BB4_130 Depth=3
	s_delay_alu instid0(SALU_CYCLE_1)
	s_or_b32 exec_lo, exec_lo, s23
.LBB4_381:                              ;   in Loop: Header=BB4_130 Depth=3
	s_delay_alu instid0(SALU_CYCLE_1) | instskip(NEXT) | instid1(VALU_DEP_1)
	s_or_b32 exec_lo, exec_lo, s22
	v_dual_max_num_f32 v2, v44, v44 :: v_dual_max_num_f32 v4, v17, v17
	s_delay_alu instid0(VALU_DEP_1)
	v_min_num_f32_e32 v17, v4, v2
.LBB4_382:                              ;   in Loop: Header=BB4_130 Depth=3
	s_or_b32 exec_lo, exec_lo, s9
	s_delay_alu instid0(VALU_DEP_1) | instskip(SKIP_4) | instid1(VALU_DEP_3)
	v_and_b32_e32 v44, 0x7f800000, v17
	v_dual_mov_b32 v45, v55 :: v_dual_mov_b32 v5, v55
	v_and_b32_e32 v4, 0x7fffff, v17
	v_lshrrev_b32_e32 v2, 24, v17
                                        ; implicit-def: $vgpr47
	s_mov_b32 s9, exec_lo
	v_cmpx_ne_u64_e32 0x7f800000, v[44:45]
	s_xor_b32 s22, exec_lo, s9
	s_cbranch_execz .LBB4_396
; %bb.383:                              ;   in Loop: Header=BB4_130 Depth=3
	v_and_b32_e32 v44, 0x7fffffff, v17
	v_mov_b32_e32 v45, v55
	v_and_b32_e32 v2, 0x80, v2
                                        ; implicit-def: $vgpr47
	s_mov_b32 s9, exec_lo
	s_delay_alu instid0(VALU_DEP_2)
	v_cmpx_gt_u64_e32 0x47600001, v[44:45]
	s_xor_b32 s23, exec_lo, s9
	s_cbranch_execz .LBB4_393
; %bb.384:                              ;   in Loop: Header=BB4_130 Depth=3
	v_mov_b32_e32 v47, 0
	s_mov_b32 s24, exec_lo
	v_cmpx_ne_u32_e32 0, v17
	s_cbranch_execz .LBB4_392
; %bb.385:                              ;   in Loop: Header=BB4_130 Depth=3
	v_bfe_u32 v30, v17, 23, 8
	v_or_b32_e32 v45, 0x800000, v4
	s_delay_alu instid0(VALU_DEP_2) | instskip(SKIP_1) | instid1(VALU_DEP_2)
	v_sub_nc_u32_e32 v16, 0x71, v30
	v_cmp_gt_u32_e32 vcc_lo, 0x72, v30
	v_cndmask_b32_e32 v16, 0, v16, vcc_lo
	v_cmp_eq_u32_e32 vcc_lo, 0, v30
	s_delay_alu instid0(VALU_DEP_2) | instskip(SKIP_1) | instid1(VALU_DEP_2)
	v_cndmask_b32_e64 v44, v16, 0x70, vcc_lo
	v_cndmask_b32_e32 v4, v45, v4, vcc_lo
	v_dual_add_nc_u32 v16, 21, v44 :: v_dual_add_nc_u32 v47, 20, v44
	s_delay_alu instid0(VALU_DEP_1) | instskip(NEXT) | instid1(VALU_DEP_2)
	v_lshlrev_b64_e64 v[16:17], v16, -1
	v_lshlrev_b64_e64 v[78:79], v47, 1
	s_delay_alu instid0(VALU_DEP_2) | instskip(SKIP_1) | instid1(VALU_DEP_4)
	v_bfi_b32 v16, v16, 0, v4
	v_lshrrev_b64 v[4:5], v44, v[4:5]
	v_bfi_b32 v17, v17, 0, 0
	s_delay_alu instid0(VALU_DEP_1) | instskip(NEXT) | instid1(VALU_DEP_3)
	v_cmp_eq_u64_e64 s9, v[16:17], v[78:79]
	v_mov_b64_e32 v[16:17], v[4:5]
	s_and_saveexec_b32 s25, s9
; %bb.386:                              ;   in Loop: Header=BB4_130 Depth=3
	v_bfe_u32 v16, v4, 21, 1
	v_mov_b32_e32 v17, v55
	s_delay_alu instid0(VALU_DEP_1) | instskip(NEXT) | instid1(VALU_DEP_1)
	v_add_nc_u64_e32 v[16:17], v[4:5], v[16:17]
	v_add_nc_u64_e32 v[16:17], -1, v[16:17]
; %bb.387:                              ;   in Loop: Header=BB4_130 Depth=3
	s_or_b32 exec_lo, exec_lo, s25
	v_add_nc_u32_e32 v5, 0xffffff81, v30
	v_lshrrev_b32_e32 v17, 23, v4
	s_mov_b32 s9, exec_lo
	s_delay_alu instid0(VALU_DEP_2) | instskip(NEXT) | instid1(VALU_DEP_1)
	v_cndmask_b32_e64 v5, v5, 0xffffff82, vcc_lo
	v_add3_u32 v17, v44, v5, v17
	v_and_b32_e32 v5, 0x1fffff, v16
                                        ; implicit-def: $vgpr16
	s_delay_alu instid0(VALU_DEP_1) | instskip(SKIP_1) | instid1(VALU_DEP_2)
	v_dual_add_nc_u32 v30, 14, v17 :: v_dual_add_nc_u32 v4, v5, v4
	v_mov_b32_e32 v5, v55
	v_cmpx_ne_u32_e32 0, v30
	s_xor_b32 s9, exec_lo, s9
; %bb.388:                              ;   in Loop: Header=BB4_130 Depth=3
	s_delay_alu instid0(VALU_DEP_2) | instskip(SKIP_2) | instid1(VALU_DEP_2)
	v_cmp_lt_u64_e32 vcc_lo, 0xffffff, v[4:5]
	v_add_nc_u32_e32 v16, 15, v17
	v_cndmask_b32_e64 v17, 0, 1, vcc_lo
	v_cndmask_b32_e32 v16, v30, v16, vcc_lo
	s_delay_alu instid0(VALU_DEP_2)
	v_lshrrev_b64 v[4:5], v17, v[4:5]
; %bb.389:                              ;   in Loop: Header=BB4_130 Depth=3
	s_and_not1_saveexec_b32 s9, s9
; %bb.390:                              ;   in Loop: Header=BB4_130 Depth=3
	s_delay_alu instid0(VALU_DEP_1)
	v_bfe_u32 v16, v4, 23, 1
; %bb.391:                              ;   in Loop: Header=BB4_130 Depth=3
	s_or_b32 exec_lo, exec_lo, s9
	s_delay_alu instid0(VALU_DEP_2) | instskip(NEXT) | instid1(VALU_DEP_2)
	v_lshrrev_b64 v[4:5], 21, v[4:5]
	v_cmp_gt_i32_e32 vcc_lo, 32, v16
	v_min_i32_e32 v17, 31, v16
	v_cmp_eq_u32_e64 s9, 0, v16
	s_delay_alu instid0(VALU_DEP_4) | instskip(NEXT) | instid1(VALU_DEP_3)
	v_cndmask_b32_e32 v5, 0, v5, vcc_lo
	v_dual_cndmask_b32 v4, 3, v4 :: v_dual_lshlrev_b32 v17, 2, v17
	s_delay_alu instid0(VALU_DEP_1) | instskip(NEXT) | instid1(VALU_DEP_2)
	v_and_b32_e32 v17, 0xfc, v17
	v_cmp_eq_u64_e32 vcc_lo, 0, v[4:5]
	s_delay_alu instid0(VALU_DEP_2)
	v_and_or_b32 v4, v4, 3, v17
	s_and_b32 s9, s9, vcc_lo
	s_delay_alu instid0(VALU_DEP_1) | instid1(SALU_CYCLE_1)
	v_cndmask_b32_e64 v4, v4, 0, s9
	s_delay_alu instid0(VALU_DEP_1)
	v_or_b32_e32 v47, v4, v2
.LBB4_392:                              ;   in Loop: Header=BB4_130 Depth=3
	s_or_b32 exec_lo, exec_lo, s24
                                        ; implicit-def: $vgpr2
.LBB4_393:                              ;   in Loop: Header=BB4_130 Depth=3
	s_and_not1_saveexec_b32 s9, s23
; %bb.394:                              ;   in Loop: Header=BB4_130 Depth=3
	v_or_b32_e32 v47, 0x7b, v2
; %bb.395:                              ;   in Loop: Header=BB4_130 Depth=3
	s_or_b32 exec_lo, exec_lo, s9
                                        ; implicit-def: $vgpr17
                                        ; implicit-def: $vgpr4_vgpr5
                                        ; implicit-def: $vgpr2
.LBB4_396:                              ;   in Loop: Header=BB4_130 Depth=3
	s_and_not1_saveexec_b32 s9, s22
	s_cbranch_execz .LBB4_402
; %bb.397:                              ;   in Loop: Header=BB4_130 Depth=3
	s_mov_b32 s22, exec_lo
                                        ; implicit-def: $vgpr47
	v_cmpx_ne_u64_e32 0, v[4:5]
	s_xor_b32 s22, exec_lo, s22
; %bb.398:                              ;   in Loop: Header=BB4_130 Depth=3
	v_or_b32_e32 v47, 0x7f, v2
                                        ; implicit-def: $vgpr17
; %bb.399:                              ;   in Loop: Header=BB4_130 Depth=3
	s_and_not1_saveexec_b32 s22, s22
; %bb.400:                              ;   in Loop: Header=BB4_130 Depth=3
	v_cmp_lt_i32_e32 vcc_lo, -1, v17
	v_cndmask_b32_e32 v47, 0xfc, v58, vcc_lo
; %bb.401:                              ;   in Loop: Header=BB4_130 Depth=3
	s_or_b32 exec_lo, exec_lo, s22
.LBB4_402:                              ;   in Loop: Header=BB4_130 Depth=3
	s_delay_alu instid0(SALU_CYCLE_1) | instskip(SKIP_4) | instid1(VALU_DEP_4)
	s_or_b32 exec_lo, exec_lo, s9
	v_alignbit_b32 v4, v75, v76, v77
	v_and_b32_e32 v16, 0xff, v18
	v_mov_b32_e32 v5, v55
	v_bfe_i32 v30, v18, 0, 8
                                        ; implicit-def: $vgpr44
	v_bfe_i32 v2, v4, 0, 8
	s_delay_alu instid0(VALU_DEP_4) | instskip(SKIP_1) | instid1(SALU_CYCLE_1)
	v_cmp_ne_u16_e32 vcc_lo, 0, v16
	s_and_saveexec_b32 s9, s6
	s_xor_b32 s22, exec_lo, s9
	s_cbranch_execz .LBB4_424
; %bb.403:                              ;   in Loop: Header=BB4_130 Depth=3
	v_dual_mov_b32 v17, 0 :: v_dual_mov_b32 v16, 0
	s_and_saveexec_b32 s23, vcc_lo
	s_cbranch_execz .LBB4_413
; %bb.404:                              ;   in Loop: Header=BB4_130 Depth=3
	v_bfrev_b32_e32 v16, 1
	s_mov_b32 s24, exec_lo
	v_cmpx_ne_u16_e32 0xff80, v30
	s_cbranch_execz .LBB4_412
; %bb.405:                              ;   in Loop: Header=BB4_130 Depth=3
	v_and_b32_e32 v16, 0x7c, v18
	v_and_b32_e32 v44, 3, v18
	s_delay_alu instid0(VALU_DEP_2) | instskip(SKIP_1) | instid1(SALU_CYCLE_1)
	v_cmp_ne_u32_e64 s9, 0x7c, v16
                                        ; implicit-def: $vgpr16
	s_and_saveexec_b32 s25, s9
	s_xor_b32 s25, exec_lo, s25
	s_cbranch_execz .LBB4_409
; %bb.406:                              ;   in Loop: Header=BB4_130 Depth=3
	v_bfe_u32 v16, v18, 2, 5
	s_mov_b32 s26, exec_lo
	s_delay_alu instid0(VALU_DEP_1)
	v_cmpx_eq_u32_e32 0, v16
; %bb.407:                              ;   in Loop: Header=BB4_130 Depth=3
	v_clz_i32_u32_e32 v16, v44
	s_delay_alu instid0(VALU_DEP_1) | instskip(NEXT) | instid1(VALU_DEP_1)
	v_min_u32_e32 v16, 32, v16
	v_subrev_nc_u32_e32 v30, 29, v16
	v_sub_nc_u32_e32 v16, 30, v16
	s_delay_alu instid0(VALU_DEP_2) | instskip(NEXT) | instid1(VALU_DEP_1)
	v_lshlrev_b64_e32 v[44:45], v30, v[18:19]
	v_and_b32_e32 v44, 3, v44
; %bb.408:                              ;   in Loop: Header=BB4_130 Depth=3
	s_or_b32 exec_lo, exec_lo, s26
	v_lshlrev_b32_e32 v30, 24, v18
	s_delay_alu instid0(VALU_DEP_1) | instskip(NEXT) | instid1(VALU_DEP_1)
	v_and_b32_e32 v30, 0x80000000, v30
	v_lshl_add_u32 v16, v16, 23, v30
                                        ; implicit-def: $vgpr30
	s_delay_alu instid0(VALU_DEP_1) | instskip(NEXT) | instid1(VALU_DEP_1)
	v_lshl_or_b32 v16, v44, 21, v16
                                        ; implicit-def: $vgpr44
	v_add_nc_u32_e32 v16, 0x38000000, v16
.LBB4_409:                              ;   in Loop: Header=BB4_130 Depth=3
	s_and_not1_saveexec_b32 s25, s25
; %bb.410:                              ;   in Loop: Header=BB4_130 Depth=3
	v_cmp_lt_i16_e64 s9, -1, v30
	s_delay_alu instid0(VALU_DEP_1) | instskip(SKIP_1) | instid1(VALU_DEP_1)
	v_cndmask_b32_e64 v16, 0xff800000, v21, s9
	v_cmp_eq_u32_e64 s9, 0, v44
	v_cndmask_b32_e64 v16, 0x7f800001, v16, s9
; %bb.411:                              ;   in Loop: Header=BB4_130 Depth=3
	s_or_b32 exec_lo, exec_lo, s25
.LBB4_412:                              ;   in Loop: Header=BB4_130 Depth=3
	s_delay_alu instid0(SALU_CYCLE_1)
	s_or_b32 exec_lo, exec_lo, s24
.LBB4_413:                              ;   in Loop: Header=BB4_130 Depth=3
	s_delay_alu instid0(SALU_CYCLE_1) | instskip(NEXT) | instid1(SALU_CYCLE_1)
	s_or_b32 exec_lo, exec_lo, s23
	s_mov_b32 s23, exec_lo
	v_cmpx_ne_u16_e32 0, v2
	s_cbranch_execz .LBB4_423
; %bb.414:                              ;   in Loop: Header=BB4_130 Depth=3
	v_bfrev_b32_e32 v17, 1
	s_mov_b32 s24, exec_lo
	v_cmpx_ne_u16_e32 0xff80, v2
	s_cbranch_execz .LBB4_422
; %bb.415:                              ;   in Loop: Header=BB4_130 Depth=3
	v_and_b32_e32 v17, 0x7c, v4
	v_and_b32_e32 v30, 3, v4
	s_delay_alu instid0(VALU_DEP_2) | instskip(SKIP_1) | instid1(SALU_CYCLE_1)
	v_cmp_ne_u32_e64 s9, 0x7c, v17
                                        ; implicit-def: $vgpr17
	s_and_saveexec_b32 s25, s9
	s_xor_b32 s25, exec_lo, s25
	s_cbranch_execz .LBB4_419
; %bb.416:                              ;   in Loop: Header=BB4_130 Depth=3
	v_bfe_u32 v2, v4, 2, 5
	s_mov_b32 s26, exec_lo
	s_delay_alu instid0(VALU_DEP_1)
	v_cmpx_eq_u32_e32 0, v2
; %bb.417:                              ;   in Loop: Header=BB4_130 Depth=3
	v_clz_i32_u32_e32 v2, v30
	s_delay_alu instid0(VALU_DEP_1) | instskip(NEXT) | instid1(VALU_DEP_1)
	v_min_u32_e32 v2, 32, v2
	v_subrev_nc_u32_e32 v17, 29, v2
	s_delay_alu instid0(VALU_DEP_1) | instskip(NEXT) | instid1(VALU_DEP_1)
	v_lshlrev_b64_e32 v[44:45], v17, v[4:5]
	v_dual_sub_nc_u32 v2, 30, v2 :: v_dual_bitop2_b32 v30, 3, v44 bitop3:0x40
; %bb.418:                              ;   in Loop: Header=BB4_130 Depth=3
	s_or_b32 exec_lo, exec_lo, s26
	v_lshlrev_b32_e32 v17, 24, v4
	s_delay_alu instid0(VALU_DEP_1) | instskip(NEXT) | instid1(VALU_DEP_1)
	v_and_b32_e32 v17, 0x80000000, v17
	v_lshl_add_u32 v2, v2, 23, v17
	s_delay_alu instid0(VALU_DEP_1) | instskip(NEXT) | instid1(VALU_DEP_1)
	v_lshl_or_b32 v2, v30, 21, v2
                                        ; implicit-def: $vgpr30
	v_add_nc_u32_e32 v17, 0x38000000, v2
                                        ; implicit-def: $vgpr2
.LBB4_419:                              ;   in Loop: Header=BB4_130 Depth=3
	s_and_not1_saveexec_b32 s25, s25
; %bb.420:                              ;   in Loop: Header=BB4_130 Depth=3
	v_cmp_lt_i16_e64 s9, -1, v2
	s_delay_alu instid0(VALU_DEP_1) | instskip(SKIP_1) | instid1(VALU_DEP_1)
	v_cndmask_b32_e64 v2, 0xff800000, v21, s9
	v_cmp_eq_u32_e64 s9, 0, v30
	v_cndmask_b32_e64 v17, 0x7f800001, v2, s9
; %bb.421:                              ;   in Loop: Header=BB4_130 Depth=3
	s_or_b32 exec_lo, exec_lo, s25
.LBB4_422:                              ;   in Loop: Header=BB4_130 Depth=3
	s_delay_alu instid0(SALU_CYCLE_1)
	s_or_b32 exec_lo, exec_lo, s24
.LBB4_423:                              ;   in Loop: Header=BB4_130 Depth=3
	s_delay_alu instid0(SALU_CYCLE_1) | instskip(NEXT) | instid1(VALU_DEP_1)
	s_or_b32 exec_lo, exec_lo, s23
	v_dual_max_num_f32 v2, v17, v17 :: v_dual_max_num_f32 v16, v16, v16
                                        ; implicit-def: $vgpr30
	s_delay_alu instid0(VALU_DEP_1)
	v_max_num_f32_e32 v44, v16, v2
                                        ; implicit-def: $vgpr2
.LBB4_424:                              ;   in Loop: Header=BB4_130 Depth=3
	s_and_not1_saveexec_b32 s9, s22
	s_cbranch_execz .LBB4_446
; %bb.425:                              ;   in Loop: Header=BB4_130 Depth=3
	v_dual_mov_b32 v17, 0 :: v_dual_mov_b32 v16, 0
	s_and_saveexec_b32 s22, vcc_lo
	s_cbranch_execz .LBB4_435
; %bb.426:                              ;   in Loop: Header=BB4_130 Depth=3
	v_bfrev_b32_e32 v16, 1
	s_mov_b32 s23, exec_lo
	v_cmpx_ne_u16_e32 0xff80, v30
	s_cbranch_execz .LBB4_434
; %bb.427:                              ;   in Loop: Header=BB4_130 Depth=3
	v_and_b32_e32 v16, 0x7c, v18
	v_and_b32_e32 v44, 3, v18
	s_delay_alu instid0(VALU_DEP_2) | instskip(SKIP_1) | instid1(SALU_CYCLE_1)
	v_cmp_ne_u32_e32 vcc_lo, 0x7c, v16
                                        ; implicit-def: $vgpr16
	s_and_saveexec_b32 s24, vcc_lo
	s_xor_b32 s24, exec_lo, s24
	s_cbranch_execz .LBB4_431
; %bb.428:                              ;   in Loop: Header=BB4_130 Depth=3
	v_bfe_u32 v16, v18, 2, 5
	s_mov_b32 s25, exec_lo
	s_delay_alu instid0(VALU_DEP_1)
	v_cmpx_eq_u32_e32 0, v16
; %bb.429:                              ;   in Loop: Header=BB4_130 Depth=3
	v_clz_i32_u32_e32 v16, v44
	s_delay_alu instid0(VALU_DEP_1) | instskip(NEXT) | instid1(VALU_DEP_1)
	v_min_u32_e32 v16, 32, v16
	v_subrev_nc_u32_e32 v30, 29, v16
	v_sub_nc_u32_e32 v16, 30, v16
	s_delay_alu instid0(VALU_DEP_2) | instskip(NEXT) | instid1(VALU_DEP_1)
	v_lshlrev_b64_e32 v[44:45], v30, v[18:19]
	v_and_b32_e32 v44, 3, v44
; %bb.430:                              ;   in Loop: Header=BB4_130 Depth=3
	s_or_b32 exec_lo, exec_lo, s25
	v_lshlrev_b32_e32 v19, 24, v18
                                        ; implicit-def: $vgpr30
	s_delay_alu instid0(VALU_DEP_1) | instskip(NEXT) | instid1(VALU_DEP_1)
	v_and_b32_e32 v19, 0x80000000, v19
	v_lshl_add_u32 v16, v16, 23, v19
	s_delay_alu instid0(VALU_DEP_1) | instskip(NEXT) | instid1(VALU_DEP_1)
	v_lshl_or_b32 v16, v44, 21, v16
                                        ; implicit-def: $vgpr44
	v_add_nc_u32_e32 v16, 0x38000000, v16
.LBB4_431:                              ;   in Loop: Header=BB4_130 Depth=3
	s_and_not1_saveexec_b32 s24, s24
; %bb.432:                              ;   in Loop: Header=BB4_130 Depth=3
	v_cmp_lt_i16_e32 vcc_lo, -1, v30
	v_cndmask_b32_e32 v16, 0xff800000, v21, vcc_lo
	v_cmp_eq_u32_e32 vcc_lo, 0, v44
	s_delay_alu instid0(VALU_DEP_2)
	v_cndmask_b32_e32 v16, 0x7f800001, v16, vcc_lo
; %bb.433:                              ;   in Loop: Header=BB4_130 Depth=3
	s_or_b32 exec_lo, exec_lo, s24
.LBB4_434:                              ;   in Loop: Header=BB4_130 Depth=3
	s_delay_alu instid0(SALU_CYCLE_1)
	s_or_b32 exec_lo, exec_lo, s23
.LBB4_435:                              ;   in Loop: Header=BB4_130 Depth=3
	s_delay_alu instid0(SALU_CYCLE_1) | instskip(NEXT) | instid1(SALU_CYCLE_1)
	s_or_b32 exec_lo, exec_lo, s22
	s_mov_b32 s22, exec_lo
	v_cmpx_ne_u16_e32 0, v2
	s_cbranch_execz .LBB4_445
; %bb.436:                              ;   in Loop: Header=BB4_130 Depth=3
	v_bfrev_b32_e32 v17, 1
	s_mov_b32 s23, exec_lo
	v_cmpx_ne_u16_e32 0xff80, v2
	s_cbranch_execz .LBB4_444
; %bb.437:                              ;   in Loop: Header=BB4_130 Depth=3
	v_and_b32_e32 v17, 0x7c, v4
	v_and_b32_e32 v19, 3, v4
	s_delay_alu instid0(VALU_DEP_2) | instskip(SKIP_1) | instid1(SALU_CYCLE_1)
	v_cmp_ne_u32_e32 vcc_lo, 0x7c, v17
                                        ; implicit-def: $vgpr17
	s_and_saveexec_b32 s24, vcc_lo
	s_xor_b32 s24, exec_lo, s24
	s_cbranch_execz .LBB4_441
; %bb.438:                              ;   in Loop: Header=BB4_130 Depth=3
	v_bfe_u32 v2, v4, 2, 5
	s_mov_b32 s25, exec_lo
	s_delay_alu instid0(VALU_DEP_1)
	v_cmpx_eq_u32_e32 0, v2
; %bb.439:                              ;   in Loop: Header=BB4_130 Depth=3
	v_clz_i32_u32_e32 v2, v19
	s_delay_alu instid0(VALU_DEP_1) | instskip(NEXT) | instid1(VALU_DEP_1)
	v_min_u32_e32 v2, 32, v2
	v_subrev_nc_u32_e32 v17, 29, v2
	s_delay_alu instid0(VALU_DEP_1) | instskip(NEXT) | instid1(VALU_DEP_1)
	v_lshlrev_b64_e32 v[44:45], v17, v[4:5]
	v_dual_sub_nc_u32 v2, 30, v2 :: v_dual_bitop2_b32 v19, 3, v44 bitop3:0x40
; %bb.440:                              ;   in Loop: Header=BB4_130 Depth=3
	s_or_b32 exec_lo, exec_lo, s25
	v_lshlrev_b32_e32 v5, 24, v4
	s_delay_alu instid0(VALU_DEP_1) | instskip(NEXT) | instid1(VALU_DEP_1)
	v_and_b32_e32 v5, 0x80000000, v5
	v_lshl_add_u32 v2, v2, 23, v5
	s_delay_alu instid0(VALU_DEP_1) | instskip(NEXT) | instid1(VALU_DEP_1)
	v_lshl_or_b32 v2, v19, 21, v2
                                        ; implicit-def: $vgpr19
	v_add_nc_u32_e32 v17, 0x38000000, v2
                                        ; implicit-def: $vgpr2
.LBB4_441:                              ;   in Loop: Header=BB4_130 Depth=3
	s_and_not1_saveexec_b32 s24, s24
; %bb.442:                              ;   in Loop: Header=BB4_130 Depth=3
	v_cmp_lt_i16_e32 vcc_lo, -1, v2
	v_cndmask_b32_e32 v2, 0xff800000, v21, vcc_lo
	v_cmp_eq_u32_e32 vcc_lo, 0, v19
	s_delay_alu instid0(VALU_DEP_2)
	v_cndmask_b32_e32 v17, 0x7f800001, v2, vcc_lo
; %bb.443:                              ;   in Loop: Header=BB4_130 Depth=3
	s_or_b32 exec_lo, exec_lo, s24
.LBB4_444:                              ;   in Loop: Header=BB4_130 Depth=3
	s_delay_alu instid0(SALU_CYCLE_1)
	s_or_b32 exec_lo, exec_lo, s23
.LBB4_445:                              ;   in Loop: Header=BB4_130 Depth=3
	s_delay_alu instid0(SALU_CYCLE_1) | instskip(NEXT) | instid1(VALU_DEP_1)
	s_or_b32 exec_lo, exec_lo, s22
	v_dual_max_num_f32 v2, v17, v17 :: v_dual_max_num_f32 v5, v16, v16
	s_delay_alu instid0(VALU_DEP_1)
	v_min_num_f32_e32 v44, v5, v2
.LBB4_446:                              ;   in Loop: Header=BB4_130 Depth=3
	s_or_b32 exec_lo, exec_lo, s9
	s_delay_alu instid0(VALU_DEP_1) | instskip(SKIP_4) | instid1(VALU_DEP_3)
	v_and_b32_e32 v76, 0x7f800000, v44
	v_dual_mov_b32 v77, v55 :: v_dual_mov_b32 v17, v55
	v_and_b32_e32 v16, 0x7fffff, v44
	v_lshrrev_b32_e32 v2, 24, v44
                                        ; implicit-def: $vgpr75
	s_mov_b32 s9, exec_lo
	v_cmpx_ne_u64_e32 0x7f800000, v[76:77]
	s_xor_b32 s22, exec_lo, s9
	s_cbranch_execz .LBB4_460
; %bb.447:                              ;   in Loop: Header=BB4_130 Depth=3
	v_and_b32_e32 v76, 0x7fffffff, v44
	v_mov_b32_e32 v77, v55
	v_and_b32_e32 v2, 0x80, v2
                                        ; implicit-def: $vgpr75
	s_mov_b32 s9, exec_lo
	s_delay_alu instid0(VALU_DEP_2)
	v_cmpx_gt_u64_e32 0x47600001, v[76:77]
	s_xor_b32 s23, exec_lo, s9
	s_cbranch_execz .LBB4_457
; %bb.448:                              ;   in Loop: Header=BB4_130 Depth=3
	v_mov_b32_e32 v75, 0
	s_mov_b32 s24, exec_lo
	v_cmpx_ne_u32_e32 0, v44
	s_cbranch_execz .LBB4_456
; %bb.449:                              ;   in Loop: Header=BB4_130 Depth=3
	v_bfe_u32 v5, v44, 23, 8
	v_or_b32_e32 v75, 0x800000, v16
	s_delay_alu instid0(VALU_DEP_2) | instskip(SKIP_1) | instid1(VALU_DEP_2)
	v_sub_nc_u32_e32 v19, 0x71, v5
	v_cmp_gt_u32_e32 vcc_lo, 0x72, v5
	v_cndmask_b32_e32 v19, 0, v19, vcc_lo
	v_cmp_eq_u32_e32 vcc_lo, 0, v5
	s_delay_alu instid0(VALU_DEP_2) | instskip(NEXT) | instid1(VALU_DEP_1)
	v_cndmask_b32_e64 v19, v19, 0x70, vcc_lo
	v_dual_cndmask_b32 v16, v75, v16, vcc_lo :: v_dual_add_nc_u32 v30, 21, v19
	s_delay_alu instid0(VALU_DEP_1) | instskip(SKIP_1) | instid1(VALU_DEP_1)
	v_lshlrev_b64_e64 v[44:45], v30, -1
	v_add_nc_u32_e32 v30, 20, v19
	v_lshlrev_b64_e64 v[76:77], v30, 1
	s_delay_alu instid0(VALU_DEP_3) | instskip(SKIP_2) | instid1(VALU_DEP_1)
	v_bfi_b32 v44, v44, 0, v16
	v_lshrrev_b64 v[16:17], v19, v[16:17]
	v_bfi_b32 v45, v45, 0, 0
	v_cmp_eq_u64_e64 s9, v[44:45], v[76:77]
	s_delay_alu instid0(VALU_DEP_3)
	v_mov_b64_e32 v[44:45], v[16:17]
	s_and_saveexec_b32 s25, s9
; %bb.450:                              ;   in Loop: Header=BB4_130 Depth=3
	v_bfe_u32 v44, v16, 21, 1
	v_mov_b32_e32 v45, v55
	s_delay_alu instid0(VALU_DEP_1) | instskip(NEXT) | instid1(VALU_DEP_1)
	v_add_nc_u64_e32 v[44:45], v[16:17], v[44:45]
	v_add_nc_u64_e32 v[44:45], -1, v[44:45]
; %bb.451:                              ;   in Loop: Header=BB4_130 Depth=3
	s_or_b32 exec_lo, exec_lo, s25
	v_add_nc_u32_e32 v5, 0xffffff81, v5
	v_lshrrev_b32_e32 v17, 23, v16
	s_mov_b32 s9, exec_lo
	s_delay_alu instid0(VALU_DEP_2) | instskip(NEXT) | instid1(VALU_DEP_1)
	v_cndmask_b32_e64 v5, v5, 0xffffff82, vcc_lo
	v_add3_u32 v19, v19, v5, v17
	v_and_b32_e32 v5, 0x1fffff, v44
	s_delay_alu instid0(VALU_DEP_2) | instskip(NEXT) | instid1(VALU_DEP_2)
	v_dual_mov_b32 v17, v55 :: v_dual_add_nc_u32 v30, 14, v19
	v_add_nc_u32_e32 v16, v5, v16
                                        ; implicit-def: $vgpr5
	s_delay_alu instid0(VALU_DEP_2)
	v_cmpx_ne_u32_e32 0, v30
	s_xor_b32 s9, exec_lo, s9
; %bb.452:                              ;   in Loop: Header=BB4_130 Depth=3
	s_delay_alu instid0(VALU_DEP_2) | instskip(SKIP_2) | instid1(VALU_DEP_2)
	v_cmp_lt_u64_e32 vcc_lo, 0xffffff, v[16:17]
	v_add_nc_u32_e32 v5, 15, v19
	v_cndmask_b32_e64 v19, 0, 1, vcc_lo
	v_cndmask_b32_e32 v5, v30, v5, vcc_lo
	s_delay_alu instid0(VALU_DEP_2)
	v_lshrrev_b64 v[16:17], v19, v[16:17]
; %bb.453:                              ;   in Loop: Header=BB4_130 Depth=3
	s_and_not1_saveexec_b32 s9, s9
; %bb.454:                              ;   in Loop: Header=BB4_130 Depth=3
	s_delay_alu instid0(VALU_DEP_1)
	v_bfe_u32 v5, v16, 23, 1
; %bb.455:                              ;   in Loop: Header=BB4_130 Depth=3
	s_or_b32 exec_lo, exec_lo, s9
	s_delay_alu instid0(VALU_DEP_2) | instskip(NEXT) | instid1(VALU_DEP_2)
	v_lshrrev_b64 v[16:17], 21, v[16:17]
	v_cmp_gt_i32_e32 vcc_lo, 32, v5
	v_min_i32_e32 v19, 31, v5
	v_cmp_eq_u32_e64 s9, 0, v5
	s_delay_alu instid0(VALU_DEP_2) | instskip(SKIP_1) | instid1(VALU_DEP_2)
	v_dual_cndmask_b32 v16, 3, v16 :: v_dual_lshlrev_b32 v19, 2, v19
	v_cndmask_b32_e32 v17, 0, v17, vcc_lo
	v_and_b32_e32 v19, 0xfc, v19
	s_delay_alu instid0(VALU_DEP_2) | instskip(NEXT) | instid1(VALU_DEP_2)
	v_cmp_eq_u64_e32 vcc_lo, 0, v[16:17]
	v_and_or_b32 v5, v16, 3, v19
	s_and_b32 s9, s9, vcc_lo
	s_delay_alu instid0(VALU_DEP_1) | instid1(SALU_CYCLE_1)
	v_cndmask_b32_e64 v5, v5, 0, s9
	s_delay_alu instid0(VALU_DEP_1)
	v_or_b32_e32 v75, v5, v2
.LBB4_456:                              ;   in Loop: Header=BB4_130 Depth=3
	s_or_b32 exec_lo, exec_lo, s24
                                        ; implicit-def: $vgpr2
.LBB4_457:                              ;   in Loop: Header=BB4_130 Depth=3
	s_and_not1_saveexec_b32 s9, s23
; %bb.458:                              ;   in Loop: Header=BB4_130 Depth=3
	v_or_b32_e32 v75, 0x7b, v2
; %bb.459:                              ;   in Loop: Header=BB4_130 Depth=3
	s_or_b32 exec_lo, exec_lo, s9
                                        ; implicit-def: $vgpr44
                                        ; implicit-def: $vgpr16_vgpr17
                                        ; implicit-def: $vgpr2
.LBB4_460:                              ;   in Loop: Header=BB4_130 Depth=3
	s_and_not1_saveexec_b32 s9, s22
	s_cbranch_execz .LBB4_466
; %bb.461:                              ;   in Loop: Header=BB4_130 Depth=3
	s_mov_b32 s22, exec_lo
                                        ; implicit-def: $vgpr75
	v_cmpx_ne_u64_e32 0, v[16:17]
	s_xor_b32 s22, exec_lo, s22
; %bb.462:                              ;   in Loop: Header=BB4_130 Depth=3
	v_or_b32_e32 v75, 0x7f, v2
                                        ; implicit-def: $vgpr44
; %bb.463:                              ;   in Loop: Header=BB4_130 Depth=3
	s_and_not1_saveexec_b32 s22, s22
; %bb.464:                              ;   in Loop: Header=BB4_130 Depth=3
	v_cmp_lt_i32_e32 vcc_lo, -1, v44
	v_cndmask_b32_e32 v75, 0xfc, v58, vcc_lo
; %bb.465:                              ;   in Loop: Header=BB4_130 Depth=3
	s_or_b32 exec_lo, exec_lo, s22
.LBB4_466:                              ;   in Loop: Header=BB4_130 Depth=3
	s_delay_alu instid0(SALU_CYCLE_1) | instskip(SKIP_2) | instid1(VALU_DEP_2)
	s_or_b32 exec_lo, exec_lo, s9
	v_lshrrev_b16 v44, 8, v18
	v_lshrrev_b16 v16, 8, v4
                                        ; implicit-def: $vgpr5
	v_and_b32_e32 v17, 0xffff, v44
	v_cmp_ne_u16_e32 vcc_lo, 0, v44
	s_and_saveexec_b32 s9, s6
	s_delay_alu instid0(SALU_CYCLE_1)
	s_xor_b32 s22, exec_lo, s9
	s_cbranch_execz .LBB4_488
; %bb.467:                              ;   in Loop: Header=BB4_130 Depth=3
	v_dual_mov_b32 v5, 0 :: v_dual_mov_b32 v2, 0
	s_and_saveexec_b32 s23, vcc_lo
	s_cbranch_execz .LBB4_477
; %bb.468:                              ;   in Loop: Header=BB4_130 Depth=3
	v_bfrev_b32_e32 v2, 1
	s_mov_b32 s24, exec_lo
	v_cmpx_ne_u16_e32 0x80, v44
	s_cbranch_execz .LBB4_476
; %bb.469:                              ;   in Loop: Header=BB4_130 Depth=3
	v_and_b32_e32 v2, 0x7c, v17
	v_and_b32_e32 v19, 3, v17
	s_delay_alu instid0(VALU_DEP_2) | instskip(SKIP_1) | instid1(SALU_CYCLE_1)
	v_cmp_ne_u32_e64 s9, 0x7c, v2
                                        ; implicit-def: $vgpr2
	s_and_saveexec_b32 s25, s9
	s_xor_b32 s25, exec_lo, s25
	s_cbranch_execz .LBB4_473
; %bb.470:                              ;   in Loop: Header=BB4_130 Depth=3
	v_bfe_u32 v2, v17, 2, 5
	s_mov_b32 s26, exec_lo
	s_delay_alu instid0(VALU_DEP_1)
	v_cmpx_eq_u32_e32 0, v2
	s_cbranch_execz .LBB4_472
; %bb.471:                              ;   in Loop: Header=BB4_130 Depth=3
	v_clz_i32_u32_e32 v2, v19
	s_delay_alu instid0(VALU_DEP_1) | instskip(SKIP_1) | instid1(VALU_DEP_2)
	v_min_u32_e32 v2, 32, v2
	v_mov_b32_e32 v45, v55
	v_subrev_nc_u32_e32 v17, 29, v2
	v_sub_nc_u32_e32 v2, 30, v2
	s_delay_alu instid0(VALU_DEP_2) | instskip(NEXT) | instid1(VALU_DEP_1)
	v_lshlrev_b64_e32 v[44:45], v17, v[44:45]
	v_and_b32_e32 v19, 3, v44
.LBB4_472:                              ;   in Loop: Header=BB4_130 Depth=3
	s_or_b32 exec_lo, exec_lo, s26
	v_lshlrev_b32_e32 v17, 16, v18
	s_delay_alu instid0(VALU_DEP_1) | instskip(NEXT) | instid1(VALU_DEP_1)
	v_and_b32_e32 v17, 0x80000000, v17
	v_lshl_add_u32 v2, v2, 23, v17
	s_delay_alu instid0(VALU_DEP_1) | instskip(NEXT) | instid1(VALU_DEP_1)
	v_lshl_or_b32 v2, v19, 21, v2
                                        ; implicit-def: $vgpr19
	v_add_nc_u32_e32 v2, 0x38000000, v2
.LBB4_473:                              ;   in Loop: Header=BB4_130 Depth=3
	s_and_not1_saveexec_b32 s25, s25
; %bb.474:                              ;   in Loop: Header=BB4_130 Depth=3
	v_cmp_lt_i16_e64 s9, -1, v18
	s_delay_alu instid0(VALU_DEP_1) | instskip(SKIP_1) | instid1(VALU_DEP_1)
	v_cndmask_b32_e64 v2, 0xff800000, v21, s9
	v_cmp_eq_u32_e64 s9, 0, v19
	v_cndmask_b32_e64 v2, 0x7f800001, v2, s9
; %bb.475:                              ;   in Loop: Header=BB4_130 Depth=3
	s_or_b32 exec_lo, exec_lo, s25
.LBB4_476:                              ;   in Loop: Header=BB4_130 Depth=3
	s_delay_alu instid0(SALU_CYCLE_1)
	s_or_b32 exec_lo, exec_lo, s24
.LBB4_477:                              ;   in Loop: Header=BB4_130 Depth=3
	s_delay_alu instid0(SALU_CYCLE_1) | instskip(NEXT) | instid1(SALU_CYCLE_1)
	s_or_b32 exec_lo, exec_lo, s23
	s_mov_b32 s23, exec_lo
	v_cmpx_ne_u16_e32 0, v16
	s_cbranch_execz .LBB4_487
; %bb.478:                              ;   in Loop: Header=BB4_130 Depth=3
	v_bfrev_b32_e32 v5, 1
	s_mov_b32 s24, exec_lo
	v_cmpx_ne_u16_e32 0x80, v16
	s_cbranch_execz .LBB4_486
; %bb.479:                              ;   in Loop: Header=BB4_130 Depth=3
	v_and_b32_e32 v19, 0xffff, v16
	s_delay_alu instid0(VALU_DEP_1) | instskip(SKIP_1) | instid1(VALU_DEP_2)
	v_and_b32_e32 v5, 0x7c, v19
	v_and_b32_e32 v17, 3, v19
	v_cmp_ne_u32_e64 s9, 0x7c, v5
                                        ; implicit-def: $vgpr5
	s_and_saveexec_b32 s25, s9
	s_delay_alu instid0(SALU_CYCLE_1)
	s_xor_b32 s25, exec_lo, s25
	s_cbranch_execz .LBB4_483
; %bb.480:                              ;   in Loop: Header=BB4_130 Depth=3
	v_bfe_u32 v5, v19, 2, 5
	s_mov_b32 s26, exec_lo
	s_delay_alu instid0(VALU_DEP_1)
	v_cmpx_eq_u32_e32 0, v5
	s_cbranch_execz .LBB4_482
; %bb.481:                              ;   in Loop: Header=BB4_130 Depth=3
	v_clz_i32_u32_e32 v5, v17
	s_delay_alu instid0(VALU_DEP_1) | instskip(SKIP_1) | instid1(VALU_DEP_2)
	v_min_u32_e32 v5, 32, v5
	v_mov_b32_e32 v17, v55
	v_subrev_nc_u32_e32 v19, 29, v5
	v_sub_nc_u32_e32 v5, 30, v5
	s_delay_alu instid0(VALU_DEP_2) | instskip(NEXT) | instid1(VALU_DEP_1)
	v_lshlrev_b64_e32 v[16:17], v19, v[16:17]
	v_and_b32_e32 v17, 3, v16
.LBB4_482:                              ;   in Loop: Header=BB4_130 Depth=3
	s_or_b32 exec_lo, exec_lo, s26
	v_lshlrev_b32_e32 v16, 16, v4
	s_delay_alu instid0(VALU_DEP_1) | instskip(NEXT) | instid1(VALU_DEP_1)
	v_and_b32_e32 v16, 0x80000000, v16
	v_lshl_add_u32 v5, v5, 23, v16
	s_delay_alu instid0(VALU_DEP_1) | instskip(NEXT) | instid1(VALU_DEP_1)
	v_lshl_or_b32 v5, v17, 21, v5
                                        ; implicit-def: $vgpr17
	v_add_nc_u32_e32 v5, 0x38000000, v5
.LBB4_483:                              ;   in Loop: Header=BB4_130 Depth=3
	s_and_not1_saveexec_b32 s25, s25
; %bb.484:                              ;   in Loop: Header=BB4_130 Depth=3
	v_cmp_lt_i16_e64 s9, -1, v4
	s_delay_alu instid0(VALU_DEP_1) | instskip(SKIP_1) | instid1(VALU_DEP_1)
	v_cndmask_b32_e64 v5, 0xff800000, v21, s9
	v_cmp_eq_u32_e64 s9, 0, v17
	v_cndmask_b32_e64 v5, 0x7f800001, v5, s9
; %bb.485:                              ;   in Loop: Header=BB4_130 Depth=3
	s_or_b32 exec_lo, exec_lo, s25
.LBB4_486:                              ;   in Loop: Header=BB4_130 Depth=3
	s_delay_alu instid0(SALU_CYCLE_1)
	s_or_b32 exec_lo, exec_lo, s24
.LBB4_487:                              ;   in Loop: Header=BB4_130 Depth=3
	s_delay_alu instid0(SALU_CYCLE_1) | instskip(NEXT) | instid1(VALU_DEP_1)
	s_or_b32 exec_lo, exec_lo, s23
	v_dual_max_num_f32 v5, v5, v5 :: v_dual_max_num_f32 v2, v2, v2
                                        ; implicit-def: $vgpr16
                                        ; implicit-def: $vgpr44
                                        ; implicit-def: $vgpr17
	s_delay_alu instid0(VALU_DEP_1)
	v_max_num_f32_e32 v5, v2, v5
.LBB4_488:                              ;   in Loop: Header=BB4_130 Depth=3
	s_and_not1_saveexec_b32 s9, s22
	s_cbranch_execz .LBB4_510
; %bb.489:                              ;   in Loop: Header=BB4_130 Depth=3
	v_dual_mov_b32 v5, 0 :: v_dual_mov_b32 v2, 0
	s_and_saveexec_b32 s22, vcc_lo
	s_cbranch_execz .LBB4_499
; %bb.490:                              ;   in Loop: Header=BB4_130 Depth=3
	v_bfrev_b32_e32 v2, 1
	s_mov_b32 s23, exec_lo
	v_cmpx_ne_u16_e32 0x80, v44
	s_cbranch_execz .LBB4_498
; %bb.491:                              ;   in Loop: Header=BB4_130 Depth=3
	v_and_b32_e32 v2, 0x7c, v17
	v_and_b32_e32 v19, 3, v17
	s_delay_alu instid0(VALU_DEP_2) | instskip(SKIP_1) | instid1(SALU_CYCLE_1)
	v_cmp_ne_u32_e32 vcc_lo, 0x7c, v2
                                        ; implicit-def: $vgpr2
	s_and_saveexec_b32 s24, vcc_lo
	s_xor_b32 s24, exec_lo, s24
	s_cbranch_execz .LBB4_495
; %bb.492:                              ;   in Loop: Header=BB4_130 Depth=3
	v_bfe_u32 v2, v17, 2, 5
	s_mov_b32 s25, exec_lo
	s_delay_alu instid0(VALU_DEP_1)
	v_cmpx_eq_u32_e32 0, v2
	s_cbranch_execz .LBB4_494
; %bb.493:                              ;   in Loop: Header=BB4_130 Depth=3
	v_clz_i32_u32_e32 v2, v19
	s_delay_alu instid0(VALU_DEP_1) | instskip(SKIP_1) | instid1(VALU_DEP_2)
	v_min_u32_e32 v2, 32, v2
	v_mov_b32_e32 v45, v55
	v_subrev_nc_u32_e32 v17, 29, v2
	v_sub_nc_u32_e32 v2, 30, v2
	s_delay_alu instid0(VALU_DEP_2) | instskip(NEXT) | instid1(VALU_DEP_1)
	v_lshlrev_b64_e32 v[44:45], v17, v[44:45]
	v_and_b32_e32 v19, 3, v44
.LBB4_494:                              ;   in Loop: Header=BB4_130 Depth=3
	s_or_b32 exec_lo, exec_lo, s25
	v_lshlrev_b32_e32 v17, 16, v18
	s_delay_alu instid0(VALU_DEP_1) | instskip(NEXT) | instid1(VALU_DEP_1)
	v_and_b32_e32 v17, 0x80000000, v17
	v_lshl_add_u32 v2, v2, 23, v17
	s_delay_alu instid0(VALU_DEP_1) | instskip(NEXT) | instid1(VALU_DEP_1)
	v_lshl_or_b32 v2, v19, 21, v2
                                        ; implicit-def: $vgpr19
	v_add_nc_u32_e32 v2, 0x38000000, v2
.LBB4_495:                              ;   in Loop: Header=BB4_130 Depth=3
	s_and_not1_saveexec_b32 s24, s24
; %bb.496:                              ;   in Loop: Header=BB4_130 Depth=3
	v_cmp_lt_i16_e32 vcc_lo, -1, v18
	v_cndmask_b32_e32 v2, 0xff800000, v21, vcc_lo
	v_cmp_eq_u32_e32 vcc_lo, 0, v19
	s_delay_alu instid0(VALU_DEP_2)
	v_cndmask_b32_e32 v2, 0x7f800001, v2, vcc_lo
; %bb.497:                              ;   in Loop: Header=BB4_130 Depth=3
	s_or_b32 exec_lo, exec_lo, s24
.LBB4_498:                              ;   in Loop: Header=BB4_130 Depth=3
	s_delay_alu instid0(SALU_CYCLE_1)
	s_or_b32 exec_lo, exec_lo, s23
.LBB4_499:                              ;   in Loop: Header=BB4_130 Depth=3
	s_delay_alu instid0(SALU_CYCLE_1) | instskip(NEXT) | instid1(SALU_CYCLE_1)
	s_or_b32 exec_lo, exec_lo, s22
	s_mov_b32 s22, exec_lo
	v_cmpx_ne_u16_e32 0, v16
	s_cbranch_execz .LBB4_509
; %bb.500:                              ;   in Loop: Header=BB4_130 Depth=3
	v_bfrev_b32_e32 v5, 1
	s_mov_b32 s23, exec_lo
	v_cmpx_ne_u16_e32 0x80, v16
	s_cbranch_execz .LBB4_508
; %bb.501:                              ;   in Loop: Header=BB4_130 Depth=3
	v_and_b32_e32 v19, 0xffff, v16
	s_delay_alu instid0(VALU_DEP_1) | instskip(SKIP_1) | instid1(VALU_DEP_2)
	v_and_b32_e32 v5, 0x7c, v19
	v_and_b32_e32 v17, 3, v19
	v_cmp_ne_u32_e32 vcc_lo, 0x7c, v5
                                        ; implicit-def: $vgpr5
	s_and_saveexec_b32 s24, vcc_lo
	s_delay_alu instid0(SALU_CYCLE_1)
	s_xor_b32 s24, exec_lo, s24
	s_cbranch_execz .LBB4_505
; %bb.502:                              ;   in Loop: Header=BB4_130 Depth=3
	v_bfe_u32 v5, v19, 2, 5
	s_mov_b32 s25, exec_lo
	s_delay_alu instid0(VALU_DEP_1)
	v_cmpx_eq_u32_e32 0, v5
	s_cbranch_execz .LBB4_504
; %bb.503:                              ;   in Loop: Header=BB4_130 Depth=3
	v_clz_i32_u32_e32 v5, v17
	s_delay_alu instid0(VALU_DEP_1) | instskip(SKIP_1) | instid1(VALU_DEP_2)
	v_min_u32_e32 v5, 32, v5
	v_mov_b32_e32 v17, v55
	v_subrev_nc_u32_e32 v19, 29, v5
	v_sub_nc_u32_e32 v5, 30, v5
	s_delay_alu instid0(VALU_DEP_2) | instskip(NEXT) | instid1(VALU_DEP_1)
	v_lshlrev_b64_e32 v[16:17], v19, v[16:17]
	v_and_b32_e32 v17, 3, v16
.LBB4_504:                              ;   in Loop: Header=BB4_130 Depth=3
	s_or_b32 exec_lo, exec_lo, s25
	v_lshlrev_b32_e32 v16, 16, v4
	s_delay_alu instid0(VALU_DEP_1) | instskip(NEXT) | instid1(VALU_DEP_1)
	v_and_b32_e32 v16, 0x80000000, v16
	v_lshl_add_u32 v5, v5, 23, v16
	s_delay_alu instid0(VALU_DEP_1) | instskip(NEXT) | instid1(VALU_DEP_1)
	v_lshl_or_b32 v5, v17, 21, v5
                                        ; implicit-def: $vgpr17
	v_add_nc_u32_e32 v5, 0x38000000, v5
.LBB4_505:                              ;   in Loop: Header=BB4_130 Depth=3
	s_and_not1_saveexec_b32 s24, s24
; %bb.506:                              ;   in Loop: Header=BB4_130 Depth=3
	v_cmp_lt_i16_e32 vcc_lo, -1, v4
	v_cndmask_b32_e32 v5, 0xff800000, v21, vcc_lo
	v_cmp_eq_u32_e32 vcc_lo, 0, v17
	s_delay_alu instid0(VALU_DEP_2)
	v_cndmask_b32_e32 v5, 0x7f800001, v5, vcc_lo
; %bb.507:                              ;   in Loop: Header=BB4_130 Depth=3
	s_or_b32 exec_lo, exec_lo, s24
.LBB4_508:                              ;   in Loop: Header=BB4_130 Depth=3
	s_delay_alu instid0(SALU_CYCLE_1)
	s_or_b32 exec_lo, exec_lo, s23
.LBB4_509:                              ;   in Loop: Header=BB4_130 Depth=3
	s_delay_alu instid0(SALU_CYCLE_1) | instskip(NEXT) | instid1(VALU_DEP_1)
	s_or_b32 exec_lo, exec_lo, s22
	v_dual_max_num_f32 v5, v5, v5 :: v_dual_max_num_f32 v2, v2, v2
	s_delay_alu instid0(VALU_DEP_1)
	v_min_num_f32_e32 v5, v2, v5
.LBB4_510:                              ;   in Loop: Header=BB4_130 Depth=3
	s_or_b32 exec_lo, exec_lo, s9
	s_delay_alu instid0(VALU_DEP_1) | instskip(SKIP_4) | instid1(VALU_DEP_3)
	v_and_b32_e32 v44, 0x7f800000, v5
	v_dual_mov_b32 v45, v55 :: v_dual_mov_b32 v17, v55
	v_and_b32_e32 v16, 0x7fffff, v5
	v_lshrrev_b32_e32 v2, 24, v5
                                        ; implicit-def: $vgpr76
	s_mov_b32 s9, exec_lo
	v_cmpx_ne_u64_e32 0x7f800000, v[44:45]
	s_xor_b32 s22, exec_lo, s9
	s_cbranch_execz .LBB4_524
; %bb.511:                              ;   in Loop: Header=BB4_130 Depth=3
	v_and_b32_e32 v44, 0x7fffffff, v5
	v_mov_b32_e32 v45, v55
	v_and_b32_e32 v2, 0x80, v2
                                        ; implicit-def: $vgpr76
	s_mov_b32 s9, exec_lo
	s_delay_alu instid0(VALU_DEP_2)
	v_cmpx_gt_u64_e32 0x47600001, v[44:45]
	s_xor_b32 s23, exec_lo, s9
	s_cbranch_execz .LBB4_521
; %bb.512:                              ;   in Loop: Header=BB4_130 Depth=3
	v_mov_b32_e32 v76, 0
	s_mov_b32 s24, exec_lo
	v_cmpx_ne_u32_e32 0, v5
	s_cbranch_execz .LBB4_520
; %bb.513:                              ;   in Loop: Header=BB4_130 Depth=3
	v_bfe_u32 v5, v5, 23, 8
	v_or_b32_e32 v76, 0x800000, v16
	s_delay_alu instid0(VALU_DEP_2) | instskip(SKIP_1) | instid1(VALU_DEP_2)
	v_sub_nc_u32_e32 v19, 0x71, v5
	v_cmp_gt_u32_e32 vcc_lo, 0x72, v5
	v_cndmask_b32_e32 v19, 0, v19, vcc_lo
	v_cmp_eq_u32_e32 vcc_lo, 0, v5
	s_delay_alu instid0(VALU_DEP_2) | instskip(NEXT) | instid1(VALU_DEP_1)
	v_cndmask_b32_e64 v19, v19, 0x70, vcc_lo
	v_dual_cndmask_b32 v16, v76, v16, vcc_lo :: v_dual_add_nc_u32 v30, 21, v19
	s_delay_alu instid0(VALU_DEP_1) | instskip(SKIP_1) | instid1(VALU_DEP_1)
	v_lshlrev_b64_e64 v[44:45], v30, -1
	v_add_nc_u32_e32 v30, 20, v19
	v_lshlrev_b64_e64 v[76:77], v30, 1
	s_delay_alu instid0(VALU_DEP_3) | instskip(SKIP_2) | instid1(VALU_DEP_1)
	v_bfi_b32 v44, v44, 0, v16
	v_lshrrev_b64 v[16:17], v19, v[16:17]
	v_bfi_b32 v45, v45, 0, 0
	v_cmp_eq_u64_e64 s9, v[44:45], v[76:77]
	s_delay_alu instid0(VALU_DEP_3)
	v_mov_b64_e32 v[44:45], v[16:17]
	s_and_saveexec_b32 s25, s9
; %bb.514:                              ;   in Loop: Header=BB4_130 Depth=3
	v_bfe_u32 v44, v16, 21, 1
	v_mov_b32_e32 v45, v55
	s_delay_alu instid0(VALU_DEP_1) | instskip(NEXT) | instid1(VALU_DEP_1)
	v_add_nc_u64_e32 v[44:45], v[16:17], v[44:45]
	v_add_nc_u64_e32 v[44:45], -1, v[44:45]
; %bb.515:                              ;   in Loop: Header=BB4_130 Depth=3
	s_or_b32 exec_lo, exec_lo, s25
	v_add_nc_u32_e32 v5, 0xffffff81, v5
	v_lshrrev_b32_e32 v17, 23, v16
	s_mov_b32 s9, exec_lo
	s_delay_alu instid0(VALU_DEP_2) | instskip(NEXT) | instid1(VALU_DEP_1)
	v_cndmask_b32_e64 v5, v5, 0xffffff82, vcc_lo
	v_add3_u32 v19, v19, v5, v17
	v_and_b32_e32 v5, 0x1fffff, v44
	s_delay_alu instid0(VALU_DEP_2) | instskip(NEXT) | instid1(VALU_DEP_2)
	v_dual_mov_b32 v17, v55 :: v_dual_add_nc_u32 v30, 14, v19
	v_add_nc_u32_e32 v16, v5, v16
                                        ; implicit-def: $vgpr5
	s_delay_alu instid0(VALU_DEP_2)
	v_cmpx_ne_u32_e32 0, v30
	s_xor_b32 s9, exec_lo, s9
; %bb.516:                              ;   in Loop: Header=BB4_130 Depth=3
	s_delay_alu instid0(VALU_DEP_2) | instskip(SKIP_2) | instid1(VALU_DEP_2)
	v_cmp_lt_u64_e32 vcc_lo, 0xffffff, v[16:17]
	v_add_nc_u32_e32 v5, 15, v19
	v_cndmask_b32_e64 v19, 0, 1, vcc_lo
	v_cndmask_b32_e32 v5, v30, v5, vcc_lo
	s_delay_alu instid0(VALU_DEP_2)
	v_lshrrev_b64 v[16:17], v19, v[16:17]
; %bb.517:                              ;   in Loop: Header=BB4_130 Depth=3
	s_and_not1_saveexec_b32 s9, s9
; %bb.518:                              ;   in Loop: Header=BB4_130 Depth=3
	s_delay_alu instid0(VALU_DEP_1)
	v_bfe_u32 v5, v16, 23, 1
; %bb.519:                              ;   in Loop: Header=BB4_130 Depth=3
	s_or_b32 exec_lo, exec_lo, s9
	s_delay_alu instid0(VALU_DEP_2) | instskip(NEXT) | instid1(VALU_DEP_2)
	v_lshrrev_b64 v[16:17], 21, v[16:17]
	v_cmp_gt_i32_e32 vcc_lo, 32, v5
	v_min_i32_e32 v19, 31, v5
	v_cmp_eq_u32_e64 s9, 0, v5
	s_delay_alu instid0(VALU_DEP_2) | instskip(SKIP_1) | instid1(VALU_DEP_2)
	v_dual_cndmask_b32 v16, 3, v16 :: v_dual_lshlrev_b32 v19, 2, v19
	v_cndmask_b32_e32 v17, 0, v17, vcc_lo
	v_and_b32_e32 v19, 0xfc, v19
	s_delay_alu instid0(VALU_DEP_2) | instskip(NEXT) | instid1(VALU_DEP_2)
	v_cmp_eq_u64_e32 vcc_lo, 0, v[16:17]
	v_and_or_b32 v5, v16, 3, v19
	s_and_b32 s9, s9, vcc_lo
	s_delay_alu instid0(VALU_DEP_1) | instid1(SALU_CYCLE_1)
	v_cndmask_b32_e64 v5, v5, 0, s9
	s_delay_alu instid0(VALU_DEP_1)
	v_or_b32_e32 v76, v5, v2
.LBB4_520:                              ;   in Loop: Header=BB4_130 Depth=3
	s_or_b32 exec_lo, exec_lo, s24
                                        ; implicit-def: $vgpr2
.LBB4_521:                              ;   in Loop: Header=BB4_130 Depth=3
	s_and_not1_saveexec_b32 s9, s23
; %bb.522:                              ;   in Loop: Header=BB4_130 Depth=3
	v_or_b32_e32 v76, 0x7b, v2
; %bb.523:                              ;   in Loop: Header=BB4_130 Depth=3
	s_or_b32 exec_lo, exec_lo, s9
                                        ; implicit-def: $vgpr5
                                        ; implicit-def: $vgpr16_vgpr17
                                        ; implicit-def: $vgpr2
.LBB4_524:                              ;   in Loop: Header=BB4_130 Depth=3
	s_and_not1_saveexec_b32 s9, s22
	s_cbranch_execz .LBB4_530
; %bb.525:                              ;   in Loop: Header=BB4_130 Depth=3
	s_mov_b32 s22, exec_lo
                                        ; implicit-def: $vgpr76
	v_cmpx_ne_u64_e32 0, v[16:17]
	s_xor_b32 s22, exec_lo, s22
; %bb.526:                              ;   in Loop: Header=BB4_130 Depth=3
	v_or_b32_e32 v76, 0x7f, v2
                                        ; implicit-def: $vgpr5
; %bb.527:                              ;   in Loop: Header=BB4_130 Depth=3
	s_and_not1_saveexec_b32 s22, s22
; %bb.528:                              ;   in Loop: Header=BB4_130 Depth=3
	v_cmp_lt_i32_e32 vcc_lo, -1, v5
	v_cndmask_b32_e32 v76, 0xfc, v58, vcc_lo
; %bb.529:                              ;   in Loop: Header=BB4_130 Depth=3
	s_or_b32 exec_lo, exec_lo, s22
.LBB4_530:                              ;   in Loop: Header=BB4_130 Depth=3
	s_delay_alu instid0(SALU_CYCLE_1) | instskip(SKIP_1) | instid1(VALU_DEP_1)
	s_or_b32 exec_lo, exec_lo, s9
	v_dual_lshrrev_b32 v16, 16, v18 :: v_dual_lshrrev_b32 v2, 16, v4
                                        ; implicit-def: $vgpr5
	v_and_b32_e32 v19, 0xff, v16
	s_delay_alu instid0(VALU_DEP_1) | instskip(SKIP_1) | instid1(SALU_CYCLE_1)
	v_cmp_ne_u16_e32 vcc_lo, 0, v19
	s_and_saveexec_b32 s9, s6
	s_xor_b32 s22, exec_lo, s9
	s_cbranch_execz .LBB4_552
; %bb.531:                              ;   in Loop: Header=BB4_130 Depth=3
	v_dual_mov_b32 v17, 0 :: v_dual_mov_b32 v5, 0
	s_and_saveexec_b32 s23, vcc_lo
	s_cbranch_execz .LBB4_541
; %bb.532:                              ;   in Loop: Header=BB4_130 Depth=3
	v_bfrev_b32_e32 v5, 1
	s_mov_b32 s24, exec_lo
	v_cmpx_ne_u16_e32 0x80, v19
	s_cbranch_execz .LBB4_540
; %bb.533:                              ;   in Loop: Header=BB4_130 Depth=3
	v_and_b32_e32 v5, 0x7c0000, v18
	v_bfe_u32 v19, v18, 16, 2
	s_delay_alu instid0(VALU_DEP_2) | instskip(SKIP_1) | instid1(SALU_CYCLE_1)
	v_cmp_ne_u32_e64 s9, 0x7c0000, v5
                                        ; implicit-def: $vgpr5
	s_and_saveexec_b32 s25, s9
	s_xor_b32 s25, exec_lo, s25
	s_cbranch_execz .LBB4_537
; %bb.534:                              ;   in Loop: Header=BB4_130 Depth=3
	v_bfe_u32 v5, v18, 18, 5
	s_mov_b32 s26, exec_lo
	s_delay_alu instid0(VALU_DEP_1)
	v_cmpx_eq_u32_e32 0, v5
; %bb.535:                              ;   in Loop: Header=BB4_130 Depth=3
	v_clz_i32_u32_e32 v5, v19
	s_delay_alu instid0(VALU_DEP_1) | instskip(NEXT) | instid1(VALU_DEP_1)
	v_min_u32_e32 v5, 32, v5
	v_subrev_nc_u32_e32 v19, 29, v5
	s_delay_alu instid0(VALU_DEP_1) | instskip(NEXT) | instid1(VALU_DEP_1)
	v_lshlrev_b64_e32 v[44:45], v19, v[16:17]
	v_dual_sub_nc_u32 v5, 30, v5 :: v_dual_bitop2_b32 v19, 3, v44 bitop3:0x40
; %bb.536:                              ;   in Loop: Header=BB4_130 Depth=3
	s_or_b32 exec_lo, exec_lo, s26
	v_lshlrev_b32_e32 v16, 24, v16
	s_delay_alu instid0(VALU_DEP_1) | instskip(NEXT) | instid1(VALU_DEP_1)
	v_and_b32_e32 v16, 0x80000000, v16
	v_lshl_add_u32 v5, v5, 23, v16
                                        ; implicit-def: $vgpr16
	s_delay_alu instid0(VALU_DEP_1) | instskip(NEXT) | instid1(VALU_DEP_1)
	v_lshl_or_b32 v5, v19, 21, v5
                                        ; implicit-def: $vgpr19
	v_add_nc_u32_e32 v5, 0x38000000, v5
.LBB4_537:                              ;   in Loop: Header=BB4_130 Depth=3
	s_and_not1_saveexec_b32 s25, s25
; %bb.538:                              ;   in Loop: Header=BB4_130 Depth=3
	v_bfe_i32 v5, v16, 0, 8
	s_delay_alu instid0(VALU_DEP_1) | instskip(NEXT) | instid1(VALU_DEP_1)
	v_cmp_lt_i16_e64 s9, -1, v5
	v_cndmask_b32_e64 v5, 0xff800000, v21, s9
	v_cmp_eq_u32_e64 s9, 0, v19
	s_delay_alu instid0(VALU_DEP_1)
	v_cndmask_b32_e64 v5, 0x7f800001, v5, s9
; %bb.539:                              ;   in Loop: Header=BB4_130 Depth=3
	s_or_b32 exec_lo, exec_lo, s25
.LBB4_540:                              ;   in Loop: Header=BB4_130 Depth=3
	s_delay_alu instid0(SALU_CYCLE_1)
	s_or_b32 exec_lo, exec_lo, s24
.LBB4_541:                              ;   in Loop: Header=BB4_130 Depth=3
	s_delay_alu instid0(SALU_CYCLE_1) | instskip(SKIP_2) | instid1(VALU_DEP_1)
	s_or_b32 exec_lo, exec_lo, s23
	v_and_b32_e32 v16, 0xff, v2
	s_mov_b32 s23, exec_lo
	v_cmpx_ne_u16_e32 0, v16
	s_cbranch_execz .LBB4_551
; %bb.542:                              ;   in Loop: Header=BB4_130 Depth=3
	v_bfrev_b32_e32 v17, 1
	s_mov_b32 s24, exec_lo
	v_cmpx_ne_u16_e32 0x80, v16
	s_cbranch_execz .LBB4_550
; %bb.543:                              ;   in Loop: Header=BB4_130 Depth=3
	v_and_b32_e32 v17, 0x7c0000, v4
	v_bfe_u32 v16, v4, 16, 2
	s_delay_alu instid0(VALU_DEP_2) | instskip(SKIP_1) | instid1(SALU_CYCLE_1)
	v_cmp_ne_u32_e64 s9, 0x7c0000, v17
                                        ; implicit-def: $vgpr17
	s_and_saveexec_b32 s25, s9
	s_xor_b32 s25, exec_lo, s25
	s_cbranch_execz .LBB4_547
; %bb.544:                              ;   in Loop: Header=BB4_130 Depth=3
	v_bfe_u32 v17, v4, 18, 5
	s_mov_b32 s26, exec_lo
	s_delay_alu instid0(VALU_DEP_1)
	v_cmpx_eq_u32_e32 0, v17
; %bb.545:                              ;   in Loop: Header=BB4_130 Depth=3
	v_clz_i32_u32_e32 v16, v16
	s_delay_alu instid0(VALU_DEP_1) | instskip(NEXT) | instid1(VALU_DEP_1)
	v_min_u32_e32 v19, 32, v16
	v_subrev_nc_u32_e32 v16, 29, v19
	s_delay_alu instid0(VALU_DEP_1) | instskip(NEXT) | instid1(VALU_DEP_1)
	v_lshlrev_b64_e32 v[16:17], v16, v[2:3]
	v_dual_sub_nc_u32 v17, 30, v19 :: v_dual_bitop2_b32 v16, 3, v16 bitop3:0x40
; %bb.546:                              ;   in Loop: Header=BB4_130 Depth=3
	s_or_b32 exec_lo, exec_lo, s26
	v_lshlrev_b32_e32 v2, 24, v2
	s_delay_alu instid0(VALU_DEP_1) | instskip(NEXT) | instid1(VALU_DEP_1)
	v_and_b32_e32 v2, 0x80000000, v2
	v_lshl_add_u32 v2, v17, 23, v2
	s_delay_alu instid0(VALU_DEP_1) | instskip(NEXT) | instid1(VALU_DEP_1)
	v_lshl_or_b32 v2, v16, 21, v2
                                        ; implicit-def: $vgpr16
	v_add_nc_u32_e32 v17, 0x38000000, v2
                                        ; implicit-def: $vgpr2
.LBB4_547:                              ;   in Loop: Header=BB4_130 Depth=3
	s_and_not1_saveexec_b32 s25, s25
; %bb.548:                              ;   in Loop: Header=BB4_130 Depth=3
	v_bfe_i32 v2, v2, 0, 8
	s_delay_alu instid0(VALU_DEP_1) | instskip(NEXT) | instid1(VALU_DEP_1)
	v_cmp_lt_i16_e64 s9, -1, v2
	v_cndmask_b32_e64 v2, 0xff800000, v21, s9
	v_cmp_eq_u32_e64 s9, 0, v16
	s_delay_alu instid0(VALU_DEP_1)
	v_cndmask_b32_e64 v17, 0x7f800001, v2, s9
; %bb.549:                              ;   in Loop: Header=BB4_130 Depth=3
	s_or_b32 exec_lo, exec_lo, s25
.LBB4_550:                              ;   in Loop: Header=BB4_130 Depth=3
	s_delay_alu instid0(SALU_CYCLE_1)
	s_or_b32 exec_lo, exec_lo, s24
.LBB4_551:                              ;   in Loop: Header=BB4_130 Depth=3
	s_delay_alu instid0(SALU_CYCLE_1) | instskip(NEXT) | instid1(VALU_DEP_1)
	s_or_b32 exec_lo, exec_lo, s23
	v_max_num_f32_e32 v2, v17, v17
	v_max_num_f32_e32 v5, v5, v5
                                        ; implicit-def: $vgpr19
                                        ; implicit-def: $vgpr16
	s_delay_alu instid0(VALU_DEP_1)
	v_max_num_f32_e32 v5, v5, v2
                                        ; implicit-def: $vgpr2
.LBB4_552:                              ;   in Loop: Header=BB4_130 Depth=3
	s_and_not1_saveexec_b32 s9, s22
	s_cbranch_execz .LBB4_574
; %bb.553:                              ;   in Loop: Header=BB4_130 Depth=3
	v_dual_mov_b32 v17, 0 :: v_dual_mov_b32 v5, 0
	s_and_saveexec_b32 s22, vcc_lo
	s_cbranch_execz .LBB4_563
; %bb.554:                              ;   in Loop: Header=BB4_130 Depth=3
	v_bfrev_b32_e32 v5, 1
	s_mov_b32 s23, exec_lo
	v_cmpx_ne_u16_e32 0x80, v19
	s_cbranch_execz .LBB4_562
; %bb.555:                              ;   in Loop: Header=BB4_130 Depth=3
	v_and_b32_e32 v5, 0x7c0000, v18
	v_bfe_u32 v19, v18, 16, 2
	s_delay_alu instid0(VALU_DEP_2) | instskip(SKIP_1) | instid1(SALU_CYCLE_1)
	v_cmp_ne_u32_e32 vcc_lo, 0x7c0000, v5
                                        ; implicit-def: $vgpr5
	s_and_saveexec_b32 s24, vcc_lo
	s_xor_b32 s24, exec_lo, s24
	s_cbranch_execz .LBB4_559
; %bb.556:                              ;   in Loop: Header=BB4_130 Depth=3
	v_bfe_u32 v5, v18, 18, 5
	s_mov_b32 s25, exec_lo
	s_delay_alu instid0(VALU_DEP_1)
	v_cmpx_eq_u32_e32 0, v5
; %bb.557:                              ;   in Loop: Header=BB4_130 Depth=3
	v_clz_i32_u32_e32 v5, v19
	s_delay_alu instid0(VALU_DEP_1) | instskip(NEXT) | instid1(VALU_DEP_1)
	v_min_u32_e32 v5, 32, v5
	v_subrev_nc_u32_e32 v19, 29, v5
	s_delay_alu instid0(VALU_DEP_1) | instskip(NEXT) | instid1(VALU_DEP_1)
	v_lshlrev_b64_e32 v[44:45], v19, v[16:17]
	v_dual_sub_nc_u32 v5, 30, v5 :: v_dual_bitop2_b32 v19, 3, v44 bitop3:0x40
; %bb.558:                              ;   in Loop: Header=BB4_130 Depth=3
	s_or_b32 exec_lo, exec_lo, s25
	v_lshlrev_b32_e32 v16, 24, v16
	s_delay_alu instid0(VALU_DEP_1) | instskip(NEXT) | instid1(VALU_DEP_1)
	v_and_b32_e32 v16, 0x80000000, v16
	v_lshl_add_u32 v5, v5, 23, v16
                                        ; implicit-def: $vgpr16
	s_delay_alu instid0(VALU_DEP_1) | instskip(NEXT) | instid1(VALU_DEP_1)
	v_lshl_or_b32 v5, v19, 21, v5
                                        ; implicit-def: $vgpr19
	v_add_nc_u32_e32 v5, 0x38000000, v5
.LBB4_559:                              ;   in Loop: Header=BB4_130 Depth=3
	s_and_not1_saveexec_b32 s24, s24
; %bb.560:                              ;   in Loop: Header=BB4_130 Depth=3
	v_bfe_i32 v5, v16, 0, 8
	s_delay_alu instid0(VALU_DEP_1) | instskip(SKIP_2) | instid1(VALU_DEP_2)
	v_cmp_lt_i16_e32 vcc_lo, -1, v5
	v_cndmask_b32_e32 v5, 0xff800000, v21, vcc_lo
	v_cmp_eq_u32_e32 vcc_lo, 0, v19
	v_cndmask_b32_e32 v5, 0x7f800001, v5, vcc_lo
; %bb.561:                              ;   in Loop: Header=BB4_130 Depth=3
	s_or_b32 exec_lo, exec_lo, s24
.LBB4_562:                              ;   in Loop: Header=BB4_130 Depth=3
	s_delay_alu instid0(SALU_CYCLE_1)
	s_or_b32 exec_lo, exec_lo, s23
.LBB4_563:                              ;   in Loop: Header=BB4_130 Depth=3
	s_delay_alu instid0(SALU_CYCLE_1) | instskip(SKIP_2) | instid1(VALU_DEP_1)
	s_or_b32 exec_lo, exec_lo, s22
	v_and_b32_e32 v16, 0xff, v2
	s_mov_b32 s22, exec_lo
	v_cmpx_ne_u16_e32 0, v16
	s_cbranch_execz .LBB4_573
; %bb.564:                              ;   in Loop: Header=BB4_130 Depth=3
	v_bfrev_b32_e32 v17, 1
	s_mov_b32 s23, exec_lo
	v_cmpx_ne_u16_e32 0x80, v16
	s_cbranch_execz .LBB4_572
; %bb.565:                              ;   in Loop: Header=BB4_130 Depth=3
	v_and_b32_e32 v17, 0x7c0000, v4
	v_bfe_u32 v16, v4, 16, 2
	s_delay_alu instid0(VALU_DEP_2) | instskip(SKIP_1) | instid1(SALU_CYCLE_1)
	v_cmp_ne_u32_e32 vcc_lo, 0x7c0000, v17
                                        ; implicit-def: $vgpr17
	s_and_saveexec_b32 s24, vcc_lo
	s_xor_b32 s24, exec_lo, s24
	s_cbranch_execz .LBB4_569
; %bb.566:                              ;   in Loop: Header=BB4_130 Depth=3
	v_bfe_u32 v17, v4, 18, 5
	s_mov_b32 s25, exec_lo
	s_delay_alu instid0(VALU_DEP_1)
	v_cmpx_eq_u32_e32 0, v17
; %bb.567:                              ;   in Loop: Header=BB4_130 Depth=3
	v_clz_i32_u32_e32 v16, v16
	s_delay_alu instid0(VALU_DEP_1) | instskip(NEXT) | instid1(VALU_DEP_1)
	v_min_u32_e32 v19, 32, v16
	v_subrev_nc_u32_e32 v16, 29, v19
	s_delay_alu instid0(VALU_DEP_1) | instskip(NEXT) | instid1(VALU_DEP_1)
	v_lshlrev_b64_e32 v[16:17], v16, v[2:3]
	v_dual_sub_nc_u32 v17, 30, v19 :: v_dual_bitop2_b32 v16, 3, v16 bitop3:0x40
; %bb.568:                              ;   in Loop: Header=BB4_130 Depth=3
	s_or_b32 exec_lo, exec_lo, s25
	v_lshlrev_b32_e32 v2, 24, v2
	s_delay_alu instid0(VALU_DEP_1) | instskip(NEXT) | instid1(VALU_DEP_1)
	v_and_b32_e32 v2, 0x80000000, v2
	v_lshl_add_u32 v2, v17, 23, v2
	s_delay_alu instid0(VALU_DEP_1) | instskip(NEXT) | instid1(VALU_DEP_1)
	v_lshl_or_b32 v2, v16, 21, v2
                                        ; implicit-def: $vgpr16
	v_add_nc_u32_e32 v17, 0x38000000, v2
                                        ; implicit-def: $vgpr2
.LBB4_569:                              ;   in Loop: Header=BB4_130 Depth=3
	s_and_not1_saveexec_b32 s24, s24
; %bb.570:                              ;   in Loop: Header=BB4_130 Depth=3
	v_bfe_i32 v2, v2, 0, 8
	s_delay_alu instid0(VALU_DEP_1) | instskip(SKIP_2) | instid1(VALU_DEP_2)
	v_cmp_lt_i16_e32 vcc_lo, -1, v2
	v_cndmask_b32_e32 v2, 0xff800000, v21, vcc_lo
	v_cmp_eq_u32_e32 vcc_lo, 0, v16
	v_cndmask_b32_e32 v17, 0x7f800001, v2, vcc_lo
; %bb.571:                              ;   in Loop: Header=BB4_130 Depth=3
	s_or_b32 exec_lo, exec_lo, s24
.LBB4_572:                              ;   in Loop: Header=BB4_130 Depth=3
	s_delay_alu instid0(SALU_CYCLE_1)
	s_or_b32 exec_lo, exec_lo, s23
.LBB4_573:                              ;   in Loop: Header=BB4_130 Depth=3
	s_delay_alu instid0(SALU_CYCLE_1) | instskip(NEXT) | instid1(VALU_DEP_1)
	s_or_b32 exec_lo, exec_lo, s22
	v_max_num_f32_e32 v2, v17, v17
	v_max_num_f32_e32 v5, v5, v5
	s_delay_alu instid0(VALU_DEP_1)
	v_min_num_f32_e32 v5, v5, v2
.LBB4_574:                              ;   in Loop: Header=BB4_130 Depth=3
	s_or_b32 exec_lo, exec_lo, s9
	s_delay_alu instid0(VALU_DEP_1) | instskip(SKIP_4) | instid1(VALU_DEP_3)
	v_and_b32_e32 v44, 0x7f800000, v5
	v_dual_mov_b32 v45, v55 :: v_dual_mov_b32 v17, v55
	v_and_b32_e32 v16, 0x7fffff, v5
	v_lshrrev_b32_e32 v2, 24, v5
                                        ; implicit-def: $vgpr77
	s_mov_b32 s9, exec_lo
	v_cmpx_ne_u64_e32 0x7f800000, v[44:45]
	s_xor_b32 s22, exec_lo, s9
	s_cbranch_execz .LBB4_588
; %bb.575:                              ;   in Loop: Header=BB4_130 Depth=3
	v_and_b32_e32 v44, 0x7fffffff, v5
	v_mov_b32_e32 v45, v55
	v_and_b32_e32 v2, 0x80, v2
                                        ; implicit-def: $vgpr77
	s_mov_b32 s9, exec_lo
	s_delay_alu instid0(VALU_DEP_2)
	v_cmpx_gt_u64_e32 0x47600001, v[44:45]
	s_xor_b32 s23, exec_lo, s9
	s_cbranch_execz .LBB4_585
; %bb.576:                              ;   in Loop: Header=BB4_130 Depth=3
	v_mov_b32_e32 v77, 0
	s_mov_b32 s24, exec_lo
	v_cmpx_ne_u32_e32 0, v5
	s_cbranch_execz .LBB4_584
; %bb.577:                              ;   in Loop: Header=BB4_130 Depth=3
	v_bfe_u32 v5, v5, 23, 8
	v_or_b32_e32 v77, 0x800000, v16
	s_delay_alu instid0(VALU_DEP_2) | instskip(SKIP_1) | instid1(VALU_DEP_2)
	v_sub_nc_u32_e32 v19, 0x71, v5
	v_cmp_gt_u32_e32 vcc_lo, 0x72, v5
	v_cndmask_b32_e32 v19, 0, v19, vcc_lo
	v_cmp_eq_u32_e32 vcc_lo, 0, v5
	s_delay_alu instid0(VALU_DEP_2) | instskip(NEXT) | instid1(VALU_DEP_1)
	v_cndmask_b32_e64 v19, v19, 0x70, vcc_lo
	v_dual_cndmask_b32 v16, v77, v16, vcc_lo :: v_dual_add_nc_u32 v30, 21, v19
	s_delay_alu instid0(VALU_DEP_1) | instskip(SKIP_1) | instid1(VALU_DEP_1)
	v_lshlrev_b64_e64 v[44:45], v30, -1
	v_add_nc_u32_e32 v30, 20, v19
	v_lshlrev_b64_e64 v[78:79], v30, 1
	s_delay_alu instid0(VALU_DEP_3) | instskip(SKIP_2) | instid1(VALU_DEP_1)
	v_bfi_b32 v44, v44, 0, v16
	v_lshrrev_b64 v[16:17], v19, v[16:17]
	v_bfi_b32 v45, v45, 0, 0
	v_cmp_eq_u64_e64 s9, v[44:45], v[78:79]
	s_delay_alu instid0(VALU_DEP_3)
	v_mov_b64_e32 v[44:45], v[16:17]
	s_and_saveexec_b32 s25, s9
; %bb.578:                              ;   in Loop: Header=BB4_130 Depth=3
	v_bfe_u32 v44, v16, 21, 1
	v_mov_b32_e32 v45, v55
	s_delay_alu instid0(VALU_DEP_1) | instskip(NEXT) | instid1(VALU_DEP_1)
	v_add_nc_u64_e32 v[44:45], v[16:17], v[44:45]
	v_add_nc_u64_e32 v[44:45], -1, v[44:45]
; %bb.579:                              ;   in Loop: Header=BB4_130 Depth=3
	s_or_b32 exec_lo, exec_lo, s25
	v_add_nc_u32_e32 v5, 0xffffff81, v5
	v_lshrrev_b32_e32 v17, 23, v16
	s_mov_b32 s9, exec_lo
	s_delay_alu instid0(VALU_DEP_2) | instskip(NEXT) | instid1(VALU_DEP_1)
	v_cndmask_b32_e64 v5, v5, 0xffffff82, vcc_lo
	v_add3_u32 v19, v19, v5, v17
	v_and_b32_e32 v5, 0x1fffff, v44
	s_delay_alu instid0(VALU_DEP_2) | instskip(NEXT) | instid1(VALU_DEP_2)
	v_dual_mov_b32 v17, v55 :: v_dual_add_nc_u32 v30, 14, v19
	v_add_nc_u32_e32 v16, v5, v16
                                        ; implicit-def: $vgpr5
	s_delay_alu instid0(VALU_DEP_2)
	v_cmpx_ne_u32_e32 0, v30
	s_xor_b32 s9, exec_lo, s9
; %bb.580:                              ;   in Loop: Header=BB4_130 Depth=3
	s_delay_alu instid0(VALU_DEP_2) | instskip(SKIP_2) | instid1(VALU_DEP_2)
	v_cmp_lt_u64_e32 vcc_lo, 0xffffff, v[16:17]
	v_add_nc_u32_e32 v5, 15, v19
	v_cndmask_b32_e64 v19, 0, 1, vcc_lo
	v_cndmask_b32_e32 v5, v30, v5, vcc_lo
	s_delay_alu instid0(VALU_DEP_2)
	v_lshrrev_b64 v[16:17], v19, v[16:17]
; %bb.581:                              ;   in Loop: Header=BB4_130 Depth=3
	s_and_not1_saveexec_b32 s9, s9
; %bb.582:                              ;   in Loop: Header=BB4_130 Depth=3
	s_delay_alu instid0(VALU_DEP_1)
	v_bfe_u32 v5, v16, 23, 1
; %bb.583:                              ;   in Loop: Header=BB4_130 Depth=3
	s_or_b32 exec_lo, exec_lo, s9
	s_delay_alu instid0(VALU_DEP_2) | instskip(NEXT) | instid1(VALU_DEP_2)
	v_lshrrev_b64 v[16:17], 21, v[16:17]
	v_cmp_gt_i32_e32 vcc_lo, 32, v5
	v_min_i32_e32 v19, 31, v5
	v_cmp_eq_u32_e64 s9, 0, v5
	s_delay_alu instid0(VALU_DEP_2) | instskip(SKIP_1) | instid1(VALU_DEP_2)
	v_dual_cndmask_b32 v16, 3, v16 :: v_dual_lshlrev_b32 v19, 2, v19
	v_cndmask_b32_e32 v17, 0, v17, vcc_lo
	v_and_b32_e32 v19, 0xfc, v19
	s_delay_alu instid0(VALU_DEP_2) | instskip(NEXT) | instid1(VALU_DEP_2)
	v_cmp_eq_u64_e32 vcc_lo, 0, v[16:17]
	v_and_or_b32 v5, v16, 3, v19
	s_and_b32 s9, s9, vcc_lo
	s_delay_alu instid0(VALU_DEP_1) | instid1(SALU_CYCLE_1)
	v_cndmask_b32_e64 v5, v5, 0, s9
	s_delay_alu instid0(VALU_DEP_1)
	v_or_b32_e32 v77, v5, v2
.LBB4_584:                              ;   in Loop: Header=BB4_130 Depth=3
	s_or_b32 exec_lo, exec_lo, s24
                                        ; implicit-def: $vgpr2
.LBB4_585:                              ;   in Loop: Header=BB4_130 Depth=3
	s_and_not1_saveexec_b32 s9, s23
; %bb.586:                              ;   in Loop: Header=BB4_130 Depth=3
	v_or_b32_e32 v77, 0x7b, v2
; %bb.587:                              ;   in Loop: Header=BB4_130 Depth=3
	s_or_b32 exec_lo, exec_lo, s9
                                        ; implicit-def: $vgpr5
                                        ; implicit-def: $vgpr16_vgpr17
                                        ; implicit-def: $vgpr2
.LBB4_588:                              ;   in Loop: Header=BB4_130 Depth=3
	s_and_not1_saveexec_b32 s9, s22
	s_cbranch_execz .LBB4_594
; %bb.589:                              ;   in Loop: Header=BB4_130 Depth=3
	s_mov_b32 s22, exec_lo
                                        ; implicit-def: $vgpr77
	v_cmpx_ne_u64_e32 0, v[16:17]
	s_xor_b32 s22, exec_lo, s22
; %bb.590:                              ;   in Loop: Header=BB4_130 Depth=3
	v_or_b32_e32 v77, 0x7f, v2
                                        ; implicit-def: $vgpr5
; %bb.591:                              ;   in Loop: Header=BB4_130 Depth=3
	s_and_not1_saveexec_b32 s22, s22
; %bb.592:                              ;   in Loop: Header=BB4_130 Depth=3
	v_cmp_lt_i32_e32 vcc_lo, -1, v5
	v_cndmask_b32_e32 v77, 0xfc, v58, vcc_lo
; %bb.593:                              ;   in Loop: Header=BB4_130 Depth=3
	s_or_b32 exec_lo, exec_lo, s22
.LBB4_594:                              ;   in Loop: Header=BB4_130 Depth=3
	s_delay_alu instid0(SALU_CYCLE_1) | instskip(SKIP_3) | instid1(VALU_DEP_3)
	s_or_b32 exec_lo, exec_lo, s9
	v_dual_mov_b32 v44, v55 :: v_dual_mov_b32 v45, v18
	v_dual_lshrrev_b32 v30, 24, v18 :: v_dual_lshrrev_b32 v2, 24, v4
	v_dual_mov_b32 v16, v55 :: v_dual_mov_b32 v17, v4
	v_cmp_lt_u64_e32 vcc_lo, s[12:13], v[44:45]
                                        ; implicit-def: $vgpr78
	s_and_saveexec_b32 s9, s6
	s_delay_alu instid0(SALU_CYCLE_1)
	s_xor_b32 s22, exec_lo, s9
	s_cbranch_execz .LBB4_616
; %bb.595:                              ;   in Loop: Header=BB4_130 Depth=3
	v_dual_mov_b32 v19, 0 :: v_dual_mov_b32 v5, 0
	s_and_saveexec_b32 s23, vcc_lo
	s_cbranch_execz .LBB4_605
; %bb.596:                              ;   in Loop: Header=BB4_130 Depth=3
	v_bfrev_b32_e32 v5, 1
	s_mov_b32 s24, exec_lo
	v_cmpx_ne_u32_e32 0x80, v30
	s_cbranch_execz .LBB4_604
; %bb.597:                              ;   in Loop: Header=BB4_130 Depth=3
	v_and_b32_e32 v5, 0x7c000000, v18
	v_bfe_u32 v78, v18, 24, 2
	s_delay_alu instid0(VALU_DEP_2) | instskip(SKIP_1) | instid1(SALU_CYCLE_1)
	v_cmp_ne_u32_e64 s9, 0x7c000000, v5
                                        ; implicit-def: $vgpr5
	s_and_saveexec_b32 s25, s9
	s_xor_b32 s25, exec_lo, s25
	s_cbranch_execz .LBB4_601
; %bb.598:                              ;   in Loop: Header=BB4_130 Depth=3
	v_bfe_u32 v5, v18, 26, 5
	s_mov_b32 s26, exec_lo
	s_delay_alu instid0(VALU_DEP_1)
	v_cmpx_eq_u32_e32 0, v5
; %bb.599:                              ;   in Loop: Header=BB4_130 Depth=3
	v_clz_i32_u32_e32 v5, v78
	s_delay_alu instid0(VALU_DEP_1) | instskip(NEXT) | instid1(VALU_DEP_1)
	v_min_u32_e32 v5, 32, v5
	v_subrev_nc_u32_e32 v44, 29, v5
	s_delay_alu instid0(VALU_DEP_1) | instskip(NEXT) | instid1(VALU_DEP_1)
	v_lshlrev_b64_e32 v[44:45], v44, v[30:31]
	v_dual_sub_nc_u32 v5, 30, v5 :: v_dual_bitop2_b32 v78, 3, v44 bitop3:0x40
; %bb.600:                              ;   in Loop: Header=BB4_130 Depth=3
	s_or_b32 exec_lo, exec_lo, s26
	v_and_b32_e32 v18, 0x80000000, v18
                                        ; implicit-def: $vgpr44_vgpr45
	s_delay_alu instid0(VALU_DEP_1) | instskip(NEXT) | instid1(VALU_DEP_1)
	v_lshl_add_u32 v5, v5, 23, v18
	v_lshl_or_b32 v5, v78, 21, v5
                                        ; implicit-def: $vgpr78
	s_delay_alu instid0(VALU_DEP_1)
	v_add_nc_u32_e32 v5, 0x38000000, v5
.LBB4_601:                              ;   in Loop: Header=BB4_130 Depth=3
	s_and_not1_saveexec_b32 s25, s25
; %bb.602:                              ;   in Loop: Header=BB4_130 Depth=3
	v_cmp_lt_i64_e64 s9, -1, v[44:45]
	s_delay_alu instid0(VALU_DEP_1) | instskip(SKIP_1) | instid1(VALU_DEP_1)
	v_cndmask_b32_e64 v5, 0xff800000, v21, s9
	v_cmp_eq_u32_e64 s9, 0, v78
	v_cndmask_b32_e64 v5, 0x7f800001, v5, s9
; %bb.603:                              ;   in Loop: Header=BB4_130 Depth=3
	s_or_b32 exec_lo, exec_lo, s25
.LBB4_604:                              ;   in Loop: Header=BB4_130 Depth=3
	s_delay_alu instid0(SALU_CYCLE_1)
	s_or_b32 exec_lo, exec_lo, s24
.LBB4_605:                              ;   in Loop: Header=BB4_130 Depth=3
	s_delay_alu instid0(SALU_CYCLE_1) | instskip(NEXT) | instid1(SALU_CYCLE_1)
	s_or_b32 exec_lo, exec_lo, s23
	s_mov_b32 s23, exec_lo
	v_cmpx_lt_u32_e32 0xffffff, v4
	s_cbranch_execz .LBB4_615
; %bb.606:                              ;   in Loop: Header=BB4_130 Depth=3
	v_bfrev_b32_e32 v19, 1
	s_mov_b32 s24, exec_lo
	v_cmpx_ne_u32_e32 0x80, v2
	s_cbranch_execz .LBB4_614
; %bb.607:                              ;   in Loop: Header=BB4_130 Depth=3
	v_and_b32_e32 v19, 0x7c000000, v4
	v_bfe_u32 v18, v4, 24, 2
	s_delay_alu instid0(VALU_DEP_2) | instskip(SKIP_1) | instid1(SALU_CYCLE_1)
	v_cmp_ne_u32_e64 s9, 0x7c000000, v19
                                        ; implicit-def: $vgpr19
	s_and_saveexec_b32 s25, s9
	s_xor_b32 s25, exec_lo, s25
	s_cbranch_execz .LBB4_611
; %bb.608:                              ;   in Loop: Header=BB4_130 Depth=3
	v_bfe_u32 v16, v4, 26, 5
	s_mov_b32 s26, exec_lo
	s_delay_alu instid0(VALU_DEP_1)
	v_cmpx_eq_u32_e32 0, v16
; %bb.609:                              ;   in Loop: Header=BB4_130 Depth=3
	v_clz_i32_u32_e32 v16, v18
	s_delay_alu instid0(VALU_DEP_1) | instskip(NEXT) | instid1(VALU_DEP_1)
	v_min_u32_e32 v16, 32, v16
	v_subrev_nc_u32_e32 v17, 29, v16
	s_delay_alu instid0(VALU_DEP_1) | instskip(NEXT) | instid1(VALU_DEP_1)
	v_lshlrev_b64_e32 v[18:19], v17, v[2:3]
	v_dual_sub_nc_u32 v16, 30, v16 :: v_dual_bitop2_b32 v18, 3, v18 bitop3:0x40
; %bb.610:                              ;   in Loop: Header=BB4_130 Depth=3
	s_or_b32 exec_lo, exec_lo, s26
	v_and_b32_e32 v2, 0x80000000, v4
	s_delay_alu instid0(VALU_DEP_1) | instskip(NEXT) | instid1(VALU_DEP_1)
	v_lshl_add_u32 v2, v16, 23, v2
                                        ; implicit-def: $vgpr16_vgpr17
	v_lshl_or_b32 v2, v18, 21, v2
                                        ; implicit-def: $vgpr18
	s_delay_alu instid0(VALU_DEP_1)
	v_add_nc_u32_e32 v19, 0x38000000, v2
.LBB4_611:                              ;   in Loop: Header=BB4_130 Depth=3
	s_and_not1_saveexec_b32 s25, s25
; %bb.612:                              ;   in Loop: Header=BB4_130 Depth=3
	v_cmp_lt_i64_e64 s9, -1, v[16:17]
	s_delay_alu instid0(VALU_DEP_1) | instskip(SKIP_1) | instid1(VALU_DEP_1)
	v_cndmask_b32_e64 v2, 0xff800000, v21, s9
	v_cmp_eq_u32_e64 s9, 0, v18
	v_cndmask_b32_e64 v19, 0x7f800001, v2, s9
; %bb.613:                              ;   in Loop: Header=BB4_130 Depth=3
	s_or_b32 exec_lo, exec_lo, s25
.LBB4_614:                              ;   in Loop: Header=BB4_130 Depth=3
	s_delay_alu instid0(SALU_CYCLE_1)
	s_or_b32 exec_lo, exec_lo, s24
.LBB4_615:                              ;   in Loop: Header=BB4_130 Depth=3
	s_delay_alu instid0(SALU_CYCLE_1) | instskip(NEXT) | instid1(VALU_DEP_1)
	s_or_b32 exec_lo, exec_lo, s23
	v_dual_max_num_f32 v2, v19, v19 :: v_dual_max_num_f32 v4, v5, v5
                                        ; implicit-def: $vgpr30
                                        ; implicit-def: $vgpr16_vgpr17
                                        ; implicit-def: $vgpr44_vgpr45
                                        ; implicit-def: $vgpr18_vgpr19
	s_delay_alu instid0(VALU_DEP_1)
	v_max_num_f32_e32 v78, v4, v2
                                        ; implicit-def: $vgpr4_vgpr5
                                        ; implicit-def: $vgpr2
.LBB4_616:                              ;   in Loop: Header=BB4_130 Depth=3
	s_and_not1_saveexec_b32 s9, s22
	s_cbranch_execz .LBB4_638
; %bb.617:                              ;   in Loop: Header=BB4_130 Depth=3
	v_dual_mov_b32 v19, 0 :: v_dual_mov_b32 v5, 0
	s_and_saveexec_b32 s22, vcc_lo
	s_cbranch_execz .LBB4_627
; %bb.618:                              ;   in Loop: Header=BB4_130 Depth=3
	v_bfrev_b32_e32 v5, 1
	s_mov_b32 s23, exec_lo
	v_cmpx_ne_u32_e32 0x80, v30
	s_cbranch_execz .LBB4_626
; %bb.619:                              ;   in Loop: Header=BB4_130 Depth=3
	v_and_b32_e32 v5, 0x7c000000, v18
	v_bfe_u32 v78, v18, 24, 2
	s_delay_alu instid0(VALU_DEP_2) | instskip(SKIP_1) | instid1(SALU_CYCLE_1)
	v_cmp_ne_u32_e32 vcc_lo, 0x7c000000, v5
                                        ; implicit-def: $vgpr5
	s_and_saveexec_b32 s24, vcc_lo
	s_xor_b32 s24, exec_lo, s24
	s_cbranch_execz .LBB4_623
; %bb.620:                              ;   in Loop: Header=BB4_130 Depth=3
	v_bfe_u32 v5, v18, 26, 5
	s_mov_b32 s25, exec_lo
	s_delay_alu instid0(VALU_DEP_1)
	v_cmpx_eq_u32_e32 0, v5
; %bb.621:                              ;   in Loop: Header=BB4_130 Depth=3
	v_clz_i32_u32_e32 v5, v78
	s_delay_alu instid0(VALU_DEP_1) | instskip(NEXT) | instid1(VALU_DEP_1)
	v_min_u32_e32 v5, 32, v5
	v_subrev_nc_u32_e32 v44, 29, v5
	s_delay_alu instid0(VALU_DEP_1) | instskip(NEXT) | instid1(VALU_DEP_1)
	v_lshlrev_b64_e32 v[44:45], v44, v[30:31]
	v_dual_sub_nc_u32 v5, 30, v5 :: v_dual_bitop2_b32 v78, 3, v44 bitop3:0x40
; %bb.622:                              ;   in Loop: Header=BB4_130 Depth=3
	s_or_b32 exec_lo, exec_lo, s25
	v_and_b32_e32 v18, 0x80000000, v18
                                        ; implicit-def: $vgpr44_vgpr45
	s_delay_alu instid0(VALU_DEP_1) | instskip(NEXT) | instid1(VALU_DEP_1)
	v_lshl_add_u32 v5, v5, 23, v18
	v_lshl_or_b32 v5, v78, 21, v5
                                        ; implicit-def: $vgpr78
	s_delay_alu instid0(VALU_DEP_1)
	v_add_nc_u32_e32 v5, 0x38000000, v5
.LBB4_623:                              ;   in Loop: Header=BB4_130 Depth=3
	s_and_not1_saveexec_b32 s24, s24
; %bb.624:                              ;   in Loop: Header=BB4_130 Depth=3
	v_cmp_lt_i64_e32 vcc_lo, -1, v[44:45]
	v_cndmask_b32_e32 v5, 0xff800000, v21, vcc_lo
	v_cmp_eq_u32_e32 vcc_lo, 0, v78
	s_delay_alu instid0(VALU_DEP_2)
	v_cndmask_b32_e32 v5, 0x7f800001, v5, vcc_lo
; %bb.625:                              ;   in Loop: Header=BB4_130 Depth=3
	s_or_b32 exec_lo, exec_lo, s24
.LBB4_626:                              ;   in Loop: Header=BB4_130 Depth=3
	s_delay_alu instid0(SALU_CYCLE_1)
	s_or_b32 exec_lo, exec_lo, s23
.LBB4_627:                              ;   in Loop: Header=BB4_130 Depth=3
	s_delay_alu instid0(SALU_CYCLE_1) | instskip(NEXT) | instid1(SALU_CYCLE_1)
	s_or_b32 exec_lo, exec_lo, s22
	s_mov_b32 s22, exec_lo
	v_cmpx_lt_u32_e32 0xffffff, v4
	s_cbranch_execz .LBB4_637
; %bb.628:                              ;   in Loop: Header=BB4_130 Depth=3
	v_bfrev_b32_e32 v19, 1
	s_mov_b32 s23, exec_lo
	v_cmpx_ne_u32_e32 0x80, v2
	s_cbranch_execz .LBB4_636
; %bb.629:                              ;   in Loop: Header=BB4_130 Depth=3
	v_and_b32_e32 v19, 0x7c000000, v4
	v_bfe_u32 v18, v4, 24, 2
	s_delay_alu instid0(VALU_DEP_2) | instskip(SKIP_1) | instid1(SALU_CYCLE_1)
	v_cmp_ne_u32_e32 vcc_lo, 0x7c000000, v19
                                        ; implicit-def: $vgpr19
	s_and_saveexec_b32 s24, vcc_lo
	s_xor_b32 s24, exec_lo, s24
	s_cbranch_execz .LBB4_633
; %bb.630:                              ;   in Loop: Header=BB4_130 Depth=3
	v_bfe_u32 v16, v4, 26, 5
	s_mov_b32 s25, exec_lo
	s_delay_alu instid0(VALU_DEP_1)
	v_cmpx_eq_u32_e32 0, v16
; %bb.631:                              ;   in Loop: Header=BB4_130 Depth=3
	v_clz_i32_u32_e32 v16, v18
	s_delay_alu instid0(VALU_DEP_1) | instskip(NEXT) | instid1(VALU_DEP_1)
	v_min_u32_e32 v16, 32, v16
	v_subrev_nc_u32_e32 v17, 29, v16
	s_delay_alu instid0(VALU_DEP_1) | instskip(NEXT) | instid1(VALU_DEP_1)
	v_lshlrev_b64_e32 v[18:19], v17, v[2:3]
	v_dual_sub_nc_u32 v16, 30, v16 :: v_dual_bitop2_b32 v18, 3, v18 bitop3:0x40
; %bb.632:                              ;   in Loop: Header=BB4_130 Depth=3
	s_or_b32 exec_lo, exec_lo, s25
	v_and_b32_e32 v2, 0x80000000, v4
	s_delay_alu instid0(VALU_DEP_1) | instskip(NEXT) | instid1(VALU_DEP_1)
	v_lshl_add_u32 v2, v16, 23, v2
                                        ; implicit-def: $vgpr16_vgpr17
	v_lshl_or_b32 v2, v18, 21, v2
                                        ; implicit-def: $vgpr18
	s_delay_alu instid0(VALU_DEP_1)
	v_add_nc_u32_e32 v19, 0x38000000, v2
.LBB4_633:                              ;   in Loop: Header=BB4_130 Depth=3
	s_and_not1_saveexec_b32 s24, s24
; %bb.634:                              ;   in Loop: Header=BB4_130 Depth=3
	v_cmp_lt_i64_e32 vcc_lo, -1, v[16:17]
	v_cndmask_b32_e32 v2, 0xff800000, v21, vcc_lo
	v_cmp_eq_u32_e32 vcc_lo, 0, v18
	s_delay_alu instid0(VALU_DEP_2)
	v_cndmask_b32_e32 v19, 0x7f800001, v2, vcc_lo
; %bb.635:                              ;   in Loop: Header=BB4_130 Depth=3
	s_or_b32 exec_lo, exec_lo, s24
.LBB4_636:                              ;   in Loop: Header=BB4_130 Depth=3
	s_delay_alu instid0(SALU_CYCLE_1)
	s_or_b32 exec_lo, exec_lo, s23
.LBB4_637:                              ;   in Loop: Header=BB4_130 Depth=3
	s_delay_alu instid0(SALU_CYCLE_1) | instskip(NEXT) | instid1(VALU_DEP_1)
	s_or_b32 exec_lo, exec_lo, s22
	v_dual_max_num_f32 v2, v19, v19 :: v_dual_max_num_f32 v4, v5, v5
	s_delay_alu instid0(VALU_DEP_1)
	v_min_num_f32_e32 v78, v4, v2
.LBB4_638:                              ;   in Loop: Header=BB4_130 Depth=3
	s_or_b32 exec_lo, exec_lo, s9
	s_delay_alu instid0(VALU_DEP_1) | instskip(SKIP_3) | instid1(VALU_DEP_3)
	v_and_b32_e32 v16, 0x7f800000, v78
	v_dual_mov_b32 v17, v55 :: v_dual_mov_b32 v5, v55
	v_and_b32_e32 v4, 0x7fffff, v78
	v_lshrrev_b32_e32 v2, 24, v78
	v_cmp_ne_u64_e32 vcc_lo, 0x7f800000, v[16:17]
                                        ; implicit-def: $vgpr16
	s_and_saveexec_b32 s9, vcc_lo
	s_delay_alu instid0(SALU_CYCLE_1)
	s_xor_b32 s22, exec_lo, s9
	s_cbranch_execz .LBB4_652
; %bb.639:                              ;   in Loop: Header=BB4_130 Depth=3
	v_and_b32_e32 v16, 0x7fffffff, v78
	v_mov_b32_e32 v17, v55
	v_and_b32_e32 v2, 0x80, v2
	s_delay_alu instid0(VALU_DEP_2) | instskip(SKIP_1) | instid1(SALU_CYCLE_1)
	v_cmp_gt_u64_e32 vcc_lo, 0x47600001, v[16:17]
                                        ; implicit-def: $vgpr16
	s_and_saveexec_b32 s9, vcc_lo
	s_xor_b32 s23, exec_lo, s9
	s_cbranch_execz .LBB4_649
; %bb.640:                              ;   in Loop: Header=BB4_130 Depth=3
	v_mov_b32_e32 v16, 0
	s_mov_b32 s24, exec_lo
	v_cmpx_ne_u32_e32 0, v78
	s_cbranch_execz .LBB4_648
; %bb.641:                              ;   in Loop: Header=BB4_130 Depth=3
	v_bfe_u32 v18, v78, 23, 8
	v_or_b32_e32 v30, 0x800000, v4
	s_delay_alu instid0(VALU_DEP_2) | instskip(SKIP_1) | instid1(VALU_DEP_2)
	v_sub_nc_u32_e32 v16, 0x71, v18
	v_cmp_gt_u32_e32 vcc_lo, 0x72, v18
	v_cndmask_b32_e32 v16, 0, v16, vcc_lo
	v_cmp_eq_u32_e32 vcc_lo, 0, v18
	s_delay_alu instid0(VALU_DEP_2) | instskip(NEXT) | instid1(VALU_DEP_1)
	v_cndmask_b32_e64 v19, v16, 0x70, vcc_lo
	v_dual_cndmask_b32 v4, v30, v4, vcc_lo :: v_dual_add_nc_u32 v16, 21, v19
	v_add_nc_u32_e32 v44, 20, v19
	s_delay_alu instid0(VALU_DEP_2) | instskip(NEXT) | instid1(VALU_DEP_2)
	v_lshlrev_b64_e64 v[16:17], v16, -1
	v_lshlrev_b64_e64 v[44:45], v44, 1
	s_delay_alu instid0(VALU_DEP_2) | instskip(SKIP_1) | instid1(VALU_DEP_4)
	v_bfi_b32 v16, v16, 0, v4
	v_lshrrev_b64 v[4:5], v19, v[4:5]
	v_bfi_b32 v17, v17, 0, 0
	s_delay_alu instid0(VALU_DEP_1) | instskip(NEXT) | instid1(VALU_DEP_3)
	v_cmp_eq_u64_e64 s9, v[16:17], v[44:45]
	v_mov_b64_e32 v[16:17], v[4:5]
	s_and_saveexec_b32 s25, s9
; %bb.642:                              ;   in Loop: Header=BB4_130 Depth=3
	v_bfe_u32 v16, v4, 21, 1
	v_mov_b32_e32 v17, v55
	s_delay_alu instid0(VALU_DEP_1) | instskip(NEXT) | instid1(VALU_DEP_1)
	v_add_nc_u64_e32 v[16:17], v[4:5], v[16:17]
	v_add_nc_u64_e32 v[16:17], -1, v[16:17]
; %bb.643:                              ;   in Loop: Header=BB4_130 Depth=3
	s_or_b32 exec_lo, exec_lo, s25
	v_add_nc_u32_e32 v5, 0xffffff81, v18
	v_lshrrev_b32_e32 v17, 23, v4
	s_mov_b32 s9, exec_lo
	s_delay_alu instid0(VALU_DEP_2) | instskip(NEXT) | instid1(VALU_DEP_1)
	v_cndmask_b32_e64 v5, v5, 0xffffff82, vcc_lo
	v_add3_u32 v17, v19, v5, v17
	v_and_b32_e32 v5, 0x1fffff, v16
                                        ; implicit-def: $vgpr16
	s_delay_alu instid0(VALU_DEP_1) | instskip(SKIP_1) | instid1(VALU_DEP_2)
	v_dual_add_nc_u32 v18, 14, v17 :: v_dual_add_nc_u32 v4, v5, v4
	v_mov_b32_e32 v5, v55
	v_cmpx_ne_u32_e32 0, v18
	s_xor_b32 s9, exec_lo, s9
; %bb.644:                              ;   in Loop: Header=BB4_130 Depth=3
	s_delay_alu instid0(VALU_DEP_2) | instskip(SKIP_2) | instid1(VALU_DEP_2)
	v_cmp_lt_u64_e32 vcc_lo, 0xffffff, v[4:5]
	v_add_nc_u32_e32 v16, 15, v17
	v_cndmask_b32_e64 v17, 0, 1, vcc_lo
	v_cndmask_b32_e32 v16, v18, v16, vcc_lo
	s_delay_alu instid0(VALU_DEP_2)
	v_lshrrev_b64 v[4:5], v17, v[4:5]
; %bb.645:                              ;   in Loop: Header=BB4_130 Depth=3
	s_and_not1_saveexec_b32 s9, s9
; %bb.646:                              ;   in Loop: Header=BB4_130 Depth=3
	s_delay_alu instid0(VALU_DEP_1)
	v_bfe_u32 v16, v4, 23, 1
; %bb.647:                              ;   in Loop: Header=BB4_130 Depth=3
	s_or_b32 exec_lo, exec_lo, s9
	s_delay_alu instid0(VALU_DEP_2) | instskip(NEXT) | instid1(VALU_DEP_2)
	v_lshrrev_b64 v[4:5], 21, v[4:5]
	v_cmp_gt_i32_e32 vcc_lo, 32, v16
	v_min_i32_e32 v17, 31, v16
	v_cmp_eq_u32_e64 s9, 0, v16
	s_delay_alu instid0(VALU_DEP_4) | instskip(NEXT) | instid1(VALU_DEP_3)
	v_cndmask_b32_e32 v5, 0, v5, vcc_lo
	v_dual_cndmask_b32 v4, 3, v4 :: v_dual_lshlrev_b32 v17, 2, v17
	s_delay_alu instid0(VALU_DEP_1) | instskip(NEXT) | instid1(VALU_DEP_2)
	v_and_b32_e32 v17, 0xfc, v17
	v_cmp_eq_u64_e32 vcc_lo, 0, v[4:5]
	s_delay_alu instid0(VALU_DEP_2)
	v_and_or_b32 v4, v4, 3, v17
	s_and_b32 s9, s9, vcc_lo
	s_delay_alu instid0(VALU_DEP_1) | instid1(SALU_CYCLE_1)
	v_cndmask_b32_e64 v4, v4, 0, s9
	s_delay_alu instid0(VALU_DEP_1)
	v_or_b32_e32 v16, v4, v2
.LBB4_648:                              ;   in Loop: Header=BB4_130 Depth=3
	s_or_b32 exec_lo, exec_lo, s24
                                        ; implicit-def: $vgpr2
.LBB4_649:                              ;   in Loop: Header=BB4_130 Depth=3
	s_and_not1_saveexec_b32 s9, s23
; %bb.650:                              ;   in Loop: Header=BB4_130 Depth=3
	v_or_b32_e32 v16, 0x7b, v2
; %bb.651:                              ;   in Loop: Header=BB4_130 Depth=3
	s_or_b32 exec_lo, exec_lo, s9
                                        ; implicit-def: $vgpr78
                                        ; implicit-def: $vgpr4_vgpr5
                                        ; implicit-def: $vgpr2
.LBB4_652:                              ;   in Loop: Header=BB4_130 Depth=3
	s_and_not1_saveexec_b32 s9, s22
	s_cbranch_execz .LBB4_129
; %bb.653:                              ;   in Loop: Header=BB4_130 Depth=3
	s_mov_b32 s22, exec_lo
                                        ; implicit-def: $vgpr16
	v_cmpx_ne_u64_e32 0, v[4:5]
	s_xor_b32 s22, exec_lo, s22
; %bb.654:                              ;   in Loop: Header=BB4_130 Depth=3
	v_or_b32_e32 v16, 0x7f, v2
                                        ; implicit-def: $vgpr78
; %bb.655:                              ;   in Loop: Header=BB4_130 Depth=3
	s_and_not1_saveexec_b32 s22, s22
	s_cbranch_execz .LBB4_128
; %bb.656:                              ;   in Loop: Header=BB4_130 Depth=3
	v_cmp_lt_i32_e32 vcc_lo, -1, v78
	v_cndmask_b32_e32 v16, 0xfc, v58, vcc_lo
	s_branch .LBB4_128
.LBB4_657:                              ;   in Loop: Header=BB4_85 Depth=2
	s_or_b32 exec_lo, exec_lo, s21
	s_delay_alu instid0(SALU_CYCLE_1)
	s_or_b32 exec_lo, exec_lo, s20
	s_and_saveexec_b32 s9, s3
	s_cbranch_execz .LBB4_122
.LBB4_658:                              ;   in Loop: Header=BB4_85 Depth=2
	s_and_saveexec_b32 s20, s4
	s_delay_alu instid0(SALU_CYCLE_1)
	s_xor_b32 s20, exec_lo, s20
	s_cbranch_execz .LBB4_673
; %bb.659:                              ;   in Loop: Header=BB4_85 Depth=2
	s_and_saveexec_b32 s21, s5
	s_cbranch_execz .LBB4_672
; %bb.660:                              ;   in Loop: Header=BB4_85 Depth=2
	s_mov_b32 s23, exec_lo
	s_mov_b32 s22, exec_lo
	v_mbcnt_lo_u32_b32 v2, s23, 0
	global_wb scope:SCOPE_DEV
	s_wait_storecnt 0x0
	s_wait_loadcnt_dscnt 0x0
	global_inv scope:SCOPE_DEV
	v_cmpx_eq_u32_e32 0, v2
	s_cbranch_execz .LBB4_662
; %bb.661:                              ;   in Loop: Header=BB4_85 Depth=2
	s_bcnt1_i32_b32 s23, s23
	s_delay_alu instid0(SALU_CYCLE_1)
	v_dual_mov_b32 v5, v55 :: v_dual_mov_b32 v4, s23
	s_wait_loadcnt 0x0
	ds_add_u64 v0, v[4:5]
	s_trap 2
.LBB4_662:                              ;   in Loop: Header=BB4_85 Depth=2
	s_or_b32 exec_lo, exec_lo, s22
	s_trap 2
	ds_load_b64 v[4:5], v0
	s_wait_dscnt 0x0
	v_add_nc_u64_e32 v[52:53], v[52:53], v[82:83]
	s_mov_b32 s22, exec_lo
	s_delay_alu instid0(VALU_DEP_1)
	v_cmpx_lt_u64_e64 v[4:5], v[52:53]
	s_cbranch_execz .LBB4_671
; %bb.663:                              ;   in Loop: Header=BB4_85 Depth=2
	s_mov_b32 s23, 0
	s_mov_b32 s26, 0
                                        ; implicit-def: $sgpr24
                                        ; implicit-def: $sgpr25
	s_branch .LBB4_665
.LBB4_664:                              ;   in Loop: Header=BB4_665 Depth=3
	s_or_b32 exec_lo, exec_lo, s28
	s_delay_alu instid0(SALU_CYCLE_1) | instskip(NEXT) | instid1(SALU_CYCLE_1)
	s_and_b32 s27, exec_lo, s29
	s_or_b32 s23, s27, s23
	s_and_not1_b32 s24, s24, exec_lo
	s_and_b32 s27, s25, exec_lo
	s_delay_alu instid0(SALU_CYCLE_1)
	s_or_b32 s24, s24, s27
	s_and_not1_b32 exec_lo, exec_lo, s23
	s_cbranch_execz .LBB4_669
.LBB4_665:                              ;   Parent Loop BB4_36 Depth=1
                                        ;     Parent Loop BB4_85 Depth=2
                                        ; =>    This Inner Loop Header: Depth=3
	s_add_co_i32 s26, s26, 1
	s_delay_alu instid0(SALU_CYCLE_1) | instskip(SKIP_1) | instid1(SALU_CYCLE_1)
	s_cmp_lg_u32 s26, 0x2710
	s_cselect_b32 s27, -1, 0
	s_and_b32 vcc_lo, exec_lo, s27
	s_cbranch_vccz .LBB4_667
; %bb.666:                              ;   in Loop: Header=BB4_665 Depth=3
	s_mov_b32 s29, -1
	s_or_b32 s25, s25, exec_lo
	s_and_saveexec_b32 s28, s27
	s_cbranch_execz .LBB4_664
	s_branch .LBB4_668
.LBB4_667:                              ;   in Loop: Header=BB4_665 Depth=3
	s_trap 2
	ds_load_b64 v[4:5], v0
	s_and_not1_b32 s27, s27, exec_lo
	s_mov_b32 s26, 0
	s_wait_loadcnt_dscnt 0x0
	flat_load_b32 v2, v[4:5] scope:SCOPE_SYS
	s_wait_loadcnt_dscnt 0x0
	global_inv scope:SCOPE_SYS
	v_cmp_eq_u32_e32 vcc_lo, 0, v2
	s_and_b32 s28, vcc_lo, exec_lo
	s_delay_alu instid0(SALU_CYCLE_1)
	s_or_b32 s27, s27, s28
	s_mov_b32 s29, -1
	s_or_b32 s25, s25, exec_lo
	s_and_saveexec_b32 s28, s27
	s_cbranch_execz .LBB4_664
.LBB4_668:                              ;   in Loop: Header=BB4_665 Depth=3
	s_sleep 1
	s_trap 2
	ds_load_b64 v[4:5], v0
	s_wait_dscnt 0x0
	s_and_not1_b32 s25, s25, exec_lo
	v_cmp_ge_u64_e32 vcc_lo, v[4:5], v[52:53]
	s_or_not1_b32 s29, vcc_lo, exec_lo
	s_branch .LBB4_664
.LBB4_669:                              ;   in Loop: Header=BB4_85 Depth=2
	s_or_b32 exec_lo, exec_lo, s23
	s_and_saveexec_b32 s23, s24
	s_delay_alu instid0(SALU_CYCLE_1)
	s_xor_b32 s23, exec_lo, s23
	s_cbranch_execz .LBB4_671
; %bb.670:                              ;   in Loop: Header=BB4_85 Depth=2
	ds_store_b32 v0, v1
	s_trap 2
.LBB4_671:                              ;   in Loop: Header=BB4_85 Depth=2
	s_or_b32 exec_lo, exec_lo, s22
	;;#ASMSTART
	s_wakeup
	;;#ASMEND
.LBB4_672:                              ;   in Loop: Header=BB4_85 Depth=2
	s_or_b32 exec_lo, exec_lo, s21
.LBB4_673:                              ;   in Loop: Header=BB4_85 Depth=2
	s_and_not1_saveexec_b32 s20, s20
	s_cbranch_execz .LBB4_675
; %bb.674:                              ;   in Loop: Header=BB4_85 Depth=2
	global_wb scope:SCOPE_DEV
	s_wait_storecnt 0x0
	s_wait_loadcnt_dscnt 0x0
	global_inv scope:SCOPE_DEV
	s_barrier_signal -1
	s_barrier_wait -1
.LBB4_675:                              ;   in Loop: Header=BB4_85 Depth=2
	s_or_b32 exec_lo, exec_lo, s20
	s_delay_alu instid0(SALU_CYCLE_1)
	s_or_b32 exec_lo, exec_lo, s9
	s_and_saveexec_b32 s9, s7
	s_cbranch_execnz .LBB4_123
	s_branch .LBB4_124
.LBB4_676:                              ;   in Loop: Header=BB4_36 Depth=1
	s_delay_alu instid0(VALU_DEP_1)
	v_mov_b64_e32 v[16:17], v[114:115]
	s_and_saveexec_b32 s9, s8
	s_cbranch_execnz .LBB4_679
; %bb.677:                              ;   in Loop: Header=BB4_36 Depth=1
	s_or_b32 exec_lo, exec_lo, s9
	s_and_saveexec_b32 s8, s3
	s_cbranch_execnz .LBB4_1228
.LBB4_678:                              ;   in Loop: Header=BB4_36 Depth=1
	s_or_b32 exec_lo, exec_lo, s8
	s_and_saveexec_b32 s8, s7
	s_cbranch_execz .LBB4_35
	s_branch .LBB4_1246
.LBB4_679:                              ;   in Loop: Header=BB4_36 Depth=1
	flat_load_b32 v4, v[22:23]
	v_add_nc_u64_e32 v[2:3], v[10:11], v[112:113]
	v_dual_mov_b32 v116, v0 :: v_dual_bitop2_b32 v5, 7, v34 bitop3:0x40
	s_mov_b32 s19, 0
	v_add_nc_u32_e32 v42, 1, v34
	s_wait_loadcnt_dscnt 0x0
	s_delay_alu instid0(VALU_DEP_3) | instskip(SKIP_1) | instid1(VALU_DEP_2)
	v_mad_nc_u64_u32 v[2:3], v68, v4, v[2:3]
	v_ashrrev_i32_e32 v18, 31, v4
	v_mad_u32 v3, v69, v4, v3
	v_mul_lo_u32 v4, v5, s16
	s_delay_alu instid0(VALU_DEP_2) | instskip(NEXT) | instid1(VALU_DEP_2)
	v_mad_u32 v3, v68, v18, v3
	v_ashrrev_i32_e32 v5, 31, v4
	v_add_nc_u64_e32 v[18:19], v[8:9], v[112:113]
	s_delay_alu instid0(VALU_DEP_2) | instskip(NEXT) | instid1(VALU_DEP_4)
	v_lshl_add_u64 v[114:115], v[4:5], 4, v[32:33]
	v_add_nc_u64_e32 v[112:113], v[2:3], v[84:85]
	s_branch .LBB4_681
.LBB4_680:                              ;   in Loop: Header=BB4_681 Depth=2
	v_sub_nc_u32_e32 v60, v60, v86
	v_add_nc_u64_e32 v[112:113], v[112:113], v[86:87]
	s_wait_xcnt 0x0
	v_add_nc_u64_e32 v[18:19], v[18:19], v[86:87]
	v_add_nc_u32_e32 v116, v116, v20
	v_cmp_gt_i32_e32 vcc_lo, 1, v60
	s_or_b32 s19, vcc_lo, s19
	s_delay_alu instid0(SALU_CYCLE_1)
	s_and_not1_b32 exec_lo, exec_lo, s19
	s_cbranch_execz .LBB4_1227
.LBB4_681:                              ;   Parent Loop BB4_36 Depth=1
                                        ; =>  This Loop Header: Depth=2
                                        ;       Child Loop BB4_689 Depth 3
	s_delay_alu instid0(VALU_DEP_1)
	v_dual_mov_b32 v3, v113 :: v_dual_bitop2_b32 v2, -4, v112 bitop3:0x40
	v_min_u32_e32 v4, 8, v60
	v_dual_mov_b32 v45, 0 :: v_dual_bitop2_b32 v5, 3, v112 bitop3:0x40
	v_mov_b32_e32 v46, 0
	global_load_b32 v30, v[2:3], off th:TH_LOAD_NT
	s_mov_b32 s8, exec_lo
	v_add_nc_u32_e32 v54, v5, v4
	s_wait_xcnt 0x0
	s_delay_alu instid0(VALU_DEP_1)
	v_cmpx_lt_u32_e32 4, v54
	s_cbranch_execz .LBB4_683
; %bb.682:                              ;   in Loop: Header=BB4_681 Depth=2
	global_load_b32 v46, v[2:3], off offset:4 th:TH_LOAD_NT
.LBB4_683:                              ;   in Loop: Header=BB4_681 Depth=2
	s_wait_xcnt 0x0
	s_or_b32 exec_lo, exec_lo, s8
	s_delay_alu instid0(SALU_CYCLE_1)
	s_mov_b32 s8, exec_lo
	v_cmpx_lt_u64_e32 8, v[54:55]
	s_cbranch_execz .LBB4_685
; %bb.684:                              ;   in Loop: Header=BB4_681 Depth=2
	global_load_b32 v45, v[2:3], off offset:8 th:TH_LOAD_NT
.LBB4_685:                              ;   in Loop: Header=BB4_681 Depth=2
	s_wait_xcnt 0x0
	s_or_b32 exec_lo, exec_lo, s8
	v_mov_b32_e32 v117, v55
	v_cmp_eq_u32_e32 vcc_lo, 0, v59
	v_mov_b32_e32 v59, 1
	s_delay_alu instid0(VALU_DEP_3)
	v_lshl_add_u64 v[118:119], v[116:117], 4, v[114:115]
	global_load_b128 v[2:5], v[118:119], off th:TH_LOAD_NT
	s_wait_xcnt 0x0
	s_and_saveexec_b32 s20, vcc_lo
	s_cbranch_execz .LBB4_697
; %bb.686:                              ;   in Loop: Header=BB4_681 Depth=2
	s_wait_loadcnt 0x0
	v_cmp_ne_u32_e32 vcc_lo, v42, v3
	v_cmp_ne_u32_e64 s8, v42, v5
	v_mov_b32_e32 v59, 0
	s_or_b32 s8, vcc_lo, s8
	s_delay_alu instid0(SALU_CYCLE_1)
	s_and_saveexec_b32 s21, s8
	s_cbranch_execz .LBB4_696
; %bb.687:                              ;   in Loop: Header=BB4_681 Depth=2
	s_mov_b32 s25, 1
	s_mov_b32 s23, 0
                                        ; implicit-def: $sgpr22
                                        ; implicit-def: $sgpr24
	s_branch .LBB4_689
.LBB4_688:                              ;   in Loop: Header=BB4_689 Depth=3
	s_or_b32 exec_lo, exec_lo, s27
	s_delay_alu instid0(SALU_CYCLE_1) | instskip(NEXT) | instid1(SALU_CYCLE_1)
	s_and_b32 s8, exec_lo, s8
	s_or_b32 s23, s8, s23
	s_and_not1_b32 s8, s22, exec_lo
	s_and_b32 s22, s24, exec_lo
	s_delay_alu instid0(SALU_CYCLE_1)
	s_or_b32 s22, s8, s22
	s_and_not1_b32 exec_lo, exec_lo, s23
	s_cbranch_execz .LBB4_693
.LBB4_689:                              ;   Parent Loop BB4_36 Depth=1
                                        ;     Parent Loop BB4_681 Depth=2
                                        ; =>    This Inner Loop Header: Depth=3
	s_wait_loadcnt 0x0
	global_load_b128 v[2:5], v[118:119], off th:TH_LOAD_NT
	s_add_co_i32 s25, s25, 1
	s_mov_b32 s8, -1
	s_cmp_lg_u32 s25, 0x2710
	s_mov_b32 s26, -1
                                        ; implicit-def: $vgpr54
	s_cbranch_scc0 .LBB4_691
; %bb.690:                              ;   in Loop: Header=BB4_689 Depth=3
	s_or_b32 s24, s24, exec_lo
	s_wait_xcnt 0x0
	s_and_saveexec_b32 s27, s26
	s_cbranch_execz .LBB4_688
	s_branch .LBB4_692
.LBB4_691:                              ;   in Loop: Header=BB4_689 Depth=3
	s_trap 2
	ds_load_b64 v[40:41], v0
	s_mov_b32 s25, 0
	s_wait_storecnt 0x0
	s_wait_loadcnt_dscnt 0x0
	flat_load_b32 v54, v[40:41] scope:SCOPE_SYS
	s_wait_loadcnt_dscnt 0x0
	global_inv scope:SCOPE_SYS
	v_cmp_eq_u32_e32 vcc_lo, 0, v54
	s_or_not1_b32 s26, vcc_lo, exec_lo
	s_or_b32 s24, s24, exec_lo
	s_wait_xcnt 0x0
	s_and_saveexec_b32 s27, s26
	s_cbranch_execz .LBB4_688
.LBB4_692:                              ;   in Loop: Header=BB4_689 Depth=3
	s_wait_loadcnt 0x0
	v_cmp_eq_u32_e32 vcc_lo, v42, v3
	v_cmp_eq_u32_e64 s8, v42, v5
	s_and_not1_b32 s24, s24, exec_lo
	s_and_b32 s8, vcc_lo, s8
	s_delay_alu instid0(SALU_CYCLE_1)
	s_or_not1_b32 s8, s8, exec_lo
	s_branch .LBB4_688
.LBB4_693:                              ;   in Loop: Header=BB4_681 Depth=2
	s_or_b32 exec_lo, exec_lo, s23
	v_mov_b32_e32 v59, 0
	s_and_saveexec_b32 s8, s22
	s_delay_alu instid0(SALU_CYCLE_1)
	s_xor_b32 s8, exec_lo, s8
	s_cbranch_execz .LBB4_695
; %bb.694:                              ;   in Loop: Header=BB4_681 Depth=2
	v_mov_b32_e32 v59, 1
	s_wait_loadcnt 0x0
	s_wait_storecnt 0x0
	ds_store_b32 v0, v54
	s_trap 2
.LBB4_695:                              ;   in Loop: Header=BB4_681 Depth=2
	s_or_b32 exec_lo, exec_lo, s8
.LBB4_696:                              ;   in Loop: Header=BB4_681 Depth=2
	s_delay_alu instid0(SALU_CYCLE_1)
	s_or_b32 exec_lo, exec_lo, s21
.LBB4_697:                              ;   in Loop: Header=BB4_681 Depth=2
	s_delay_alu instid0(SALU_CYCLE_1) | instskip(SKIP_4) | instid1(VALU_DEP_3)
	s_or_b32 exec_lo, exec_lo, s20
	v_lshlrev_b32_e32 v61, 3, v112
	s_wait_loadcnt 0x0
	v_and_b32_e32 v117, 0xff, v2
	v_bfe_i32 v119, v2, 0, 8
                                        ; implicit-def: $vgpr40
	v_alignbit_b32 v54, v46, v30, v61
	s_delay_alu instid0(VALU_DEP_3) | instskip(NEXT) | instid1(VALU_DEP_2)
	v_cmp_ne_u16_e32 vcc_lo, 0, v117
	v_bfe_i32 v30, v54, 0, 8
	s_and_saveexec_b32 s8, s6
	s_delay_alu instid0(SALU_CYCLE_1)
	s_xor_b32 s20, exec_lo, s8
	s_cbranch_execz .LBB4_719
; %bb.698:                              ;   in Loop: Header=BB4_681 Depth=2
	v_dual_mov_b32 v118, 0 :: v_dual_mov_b32 v117, 0
	s_and_saveexec_b32 s21, vcc_lo
	s_cbranch_execz .LBB4_708
; %bb.699:                              ;   in Loop: Header=BB4_681 Depth=2
	v_bfrev_b32_e32 v117, 1
	s_mov_b32 s22, exec_lo
	v_cmpx_ne_u16_e32 0xff80, v119
	s_cbranch_execz .LBB4_707
; %bb.700:                              ;   in Loop: Header=BB4_681 Depth=2
	v_and_b32_e32 v117, 0x7c, v2
	v_and_b32_e32 v40, 3, v2
	s_delay_alu instid0(VALU_DEP_2) | instskip(SKIP_1) | instid1(SALU_CYCLE_1)
	v_cmp_ne_u32_e64 s8, 0x7c, v117
                                        ; implicit-def: $vgpr117
	s_and_saveexec_b32 s23, s8
	s_xor_b32 s23, exec_lo, s23
	s_cbranch_execz .LBB4_704
; %bb.701:                              ;   in Loop: Header=BB4_681 Depth=2
	v_bfe_u32 v117, v2, 2, 5
	s_mov_b32 s24, exec_lo
	s_delay_alu instid0(VALU_DEP_1)
	v_cmpx_eq_u32_e32 0, v117
; %bb.702:                              ;   in Loop: Header=BB4_681 Depth=2
	v_clz_i32_u32_e32 v117, v40
	s_delay_alu instid0(VALU_DEP_1) | instskip(NEXT) | instid1(VALU_DEP_1)
	v_min_u32_e32 v117, 32, v117
	v_subrev_nc_u32_e32 v119, 29, v117
	s_delay_alu instid0(VALU_DEP_1) | instskip(NEXT) | instid1(VALU_DEP_1)
	v_lshlrev_b64_e32 v[40:41], v119, v[2:3]
	v_dual_sub_nc_u32 v117, 30, v117 :: v_dual_bitop2_b32 v40, 3, v40 bitop3:0x40
; %bb.703:                              ;   in Loop: Header=BB4_681 Depth=2
	s_or_b32 exec_lo, exec_lo, s24
	v_lshlrev_b32_e32 v119, 24, v2
	s_delay_alu instid0(VALU_DEP_1) | instskip(NEXT) | instid1(VALU_DEP_1)
	v_and_b32_e32 v119, 0x80000000, v119
	v_lshl_add_u32 v117, v117, 23, v119
                                        ; implicit-def: $vgpr119
	s_delay_alu instid0(VALU_DEP_1) | instskip(NEXT) | instid1(VALU_DEP_1)
	v_lshl_or_b32 v117, v40, 21, v117
                                        ; implicit-def: $vgpr40
	v_add_nc_u32_e32 v117, 0x38000000, v117
.LBB4_704:                              ;   in Loop: Header=BB4_681 Depth=2
	s_and_not1_saveexec_b32 s23, s23
; %bb.705:                              ;   in Loop: Header=BB4_681 Depth=2
	v_cmp_lt_i16_e64 s8, -1, v119
	s_delay_alu instid0(VALU_DEP_1) | instskip(SKIP_1) | instid1(VALU_DEP_1)
	v_cndmask_b32_e64 v117, 0xff800000, v21, s8
	v_cmp_eq_u32_e64 s8, 0, v40
	v_cndmask_b32_e64 v117, 0x7f800001, v117, s8
; %bb.706:                              ;   in Loop: Header=BB4_681 Depth=2
	s_or_b32 exec_lo, exec_lo, s23
.LBB4_707:                              ;   in Loop: Header=BB4_681 Depth=2
	s_delay_alu instid0(SALU_CYCLE_1)
	s_or_b32 exec_lo, exec_lo, s22
.LBB4_708:                              ;   in Loop: Header=BB4_681 Depth=2
	s_delay_alu instid0(SALU_CYCLE_1) | instskip(NEXT) | instid1(SALU_CYCLE_1)
	s_or_b32 exec_lo, exec_lo, s21
	s_mov_b32 s21, exec_lo
	v_cmpx_ne_u16_e32 0, v30
	s_cbranch_execz .LBB4_718
; %bb.709:                              ;   in Loop: Header=BB4_681 Depth=2
	v_bfrev_b32_e32 v118, 1
	s_mov_b32 s22, exec_lo
	v_cmpx_ne_u16_e32 0xff80, v30
	s_cbranch_execz .LBB4_717
; %bb.710:                              ;   in Loop: Header=BB4_681 Depth=2
	v_and_b32_e32 v118, 0x7c, v54
	v_and_b32_e32 v119, 3, v54
	s_delay_alu instid0(VALU_DEP_2) | instskip(SKIP_1) | instid1(SALU_CYCLE_1)
	v_cmp_ne_u32_e64 s8, 0x7c, v118
                                        ; implicit-def: $vgpr118
	s_and_saveexec_b32 s23, s8
	s_xor_b32 s23, exec_lo, s23
	s_cbranch_execz .LBB4_714
; %bb.711:                              ;   in Loop: Header=BB4_681 Depth=2
	v_bfe_u32 v30, v54, 2, 5
	s_mov_b32 s24, exec_lo
	s_delay_alu instid0(VALU_DEP_1)
	v_cmpx_eq_u32_e32 0, v30
; %bb.712:                              ;   in Loop: Header=BB4_681 Depth=2
	v_clz_i32_u32_e32 v30, v119
	s_delay_alu instid0(VALU_DEP_1) | instskip(NEXT) | instid1(VALU_DEP_1)
	v_min_u32_e32 v30, 32, v30
	v_subrev_nc_u32_e32 v118, 29, v30
	v_sub_nc_u32_e32 v30, 30, v30
	s_delay_alu instid0(VALU_DEP_2) | instskip(NEXT) | instid1(VALU_DEP_1)
	v_lshlrev_b64_e32 v[118:119], v118, v[54:55]
	v_and_b32_e32 v119, 3, v118
; %bb.713:                              ;   in Loop: Header=BB4_681 Depth=2
	s_or_b32 exec_lo, exec_lo, s24
	v_lshlrev_b32_e32 v118, 24, v54
	s_delay_alu instid0(VALU_DEP_1) | instskip(NEXT) | instid1(VALU_DEP_1)
	v_and_b32_e32 v118, 0x80000000, v118
	v_lshl_add_u32 v30, v30, 23, v118
	s_delay_alu instid0(VALU_DEP_1) | instskip(NEXT) | instid1(VALU_DEP_1)
	v_lshl_or_b32 v30, v119, 21, v30
                                        ; implicit-def: $vgpr119
	v_add_nc_u32_e32 v118, 0x38000000, v30
                                        ; implicit-def: $vgpr30
.LBB4_714:                              ;   in Loop: Header=BB4_681 Depth=2
	s_and_not1_saveexec_b32 s23, s23
; %bb.715:                              ;   in Loop: Header=BB4_681 Depth=2
	v_cmp_lt_i16_e64 s8, -1, v30
	s_delay_alu instid0(VALU_DEP_1) | instskip(SKIP_1) | instid1(VALU_DEP_1)
	v_cndmask_b32_e64 v30, 0xff800000, v21, s8
	v_cmp_eq_u32_e64 s8, 0, v119
	v_cndmask_b32_e64 v118, 0x7f800001, v30, s8
; %bb.716:                              ;   in Loop: Header=BB4_681 Depth=2
	s_or_b32 exec_lo, exec_lo, s23
.LBB4_717:                              ;   in Loop: Header=BB4_681 Depth=2
	s_delay_alu instid0(SALU_CYCLE_1)
	s_or_b32 exec_lo, exec_lo, s22
.LBB4_718:                              ;   in Loop: Header=BB4_681 Depth=2
	s_delay_alu instid0(SALU_CYCLE_1) | instskip(NEXT) | instid1(VALU_DEP_1)
	s_or_b32 exec_lo, exec_lo, s21
	v_dual_max_num_f32 v30, v118, v118 :: v_dual_max_num_f32 v117, v117, v117
                                        ; implicit-def: $vgpr119
	s_delay_alu instid0(VALU_DEP_1)
	v_max_num_f32_e32 v40, v117, v30
                                        ; implicit-def: $vgpr30
.LBB4_719:                              ;   in Loop: Header=BB4_681 Depth=2
	s_and_not1_saveexec_b32 s8, s20
	s_cbranch_execz .LBB4_741
; %bb.720:                              ;   in Loop: Header=BB4_681 Depth=2
	v_dual_mov_b32 v118, 0 :: v_dual_mov_b32 v117, 0
	s_and_saveexec_b32 s20, vcc_lo
	s_cbranch_execz .LBB4_730
; %bb.721:                              ;   in Loop: Header=BB4_681 Depth=2
	v_bfrev_b32_e32 v117, 1
	s_mov_b32 s21, exec_lo
	v_cmpx_ne_u16_e32 0xff80, v119
	s_cbranch_execz .LBB4_729
; %bb.722:                              ;   in Loop: Header=BB4_681 Depth=2
	v_and_b32_e32 v117, 0x7c, v2
	v_and_b32_e32 v40, 3, v2
	s_delay_alu instid0(VALU_DEP_2) | instskip(SKIP_1) | instid1(SALU_CYCLE_1)
	v_cmp_ne_u32_e32 vcc_lo, 0x7c, v117
                                        ; implicit-def: $vgpr117
	s_and_saveexec_b32 s22, vcc_lo
	s_xor_b32 s22, exec_lo, s22
	s_cbranch_execz .LBB4_726
; %bb.723:                              ;   in Loop: Header=BB4_681 Depth=2
	v_bfe_u32 v117, v2, 2, 5
	s_mov_b32 s23, exec_lo
	s_delay_alu instid0(VALU_DEP_1)
	v_cmpx_eq_u32_e32 0, v117
; %bb.724:                              ;   in Loop: Header=BB4_681 Depth=2
	v_clz_i32_u32_e32 v117, v40
	s_delay_alu instid0(VALU_DEP_1) | instskip(NEXT) | instid1(VALU_DEP_1)
	v_min_u32_e32 v117, 32, v117
	v_subrev_nc_u32_e32 v119, 29, v117
	s_delay_alu instid0(VALU_DEP_1) | instskip(NEXT) | instid1(VALU_DEP_1)
	v_lshlrev_b64_e32 v[40:41], v119, v[2:3]
	v_dual_sub_nc_u32 v117, 30, v117 :: v_dual_bitop2_b32 v40, 3, v40 bitop3:0x40
; %bb.725:                              ;   in Loop: Header=BB4_681 Depth=2
	s_or_b32 exec_lo, exec_lo, s23
	v_lshlrev_b32_e32 v3, 24, v2
                                        ; implicit-def: $vgpr119
	s_delay_alu instid0(VALU_DEP_1) | instskip(NEXT) | instid1(VALU_DEP_1)
	v_and_b32_e32 v3, 0x80000000, v3
	v_lshl_add_u32 v3, v117, 23, v3
	s_delay_alu instid0(VALU_DEP_1) | instskip(NEXT) | instid1(VALU_DEP_1)
	v_lshl_or_b32 v3, v40, 21, v3
                                        ; implicit-def: $vgpr40
	v_add_nc_u32_e32 v117, 0x38000000, v3
.LBB4_726:                              ;   in Loop: Header=BB4_681 Depth=2
	s_and_not1_saveexec_b32 s22, s22
; %bb.727:                              ;   in Loop: Header=BB4_681 Depth=2
	v_cmp_lt_i16_e32 vcc_lo, -1, v119
	v_cndmask_b32_e32 v3, 0xff800000, v21, vcc_lo
	v_cmp_eq_u32_e32 vcc_lo, 0, v40
	s_delay_alu instid0(VALU_DEP_2)
	v_cndmask_b32_e32 v117, 0x7f800001, v3, vcc_lo
; %bb.728:                              ;   in Loop: Header=BB4_681 Depth=2
	s_or_b32 exec_lo, exec_lo, s22
.LBB4_729:                              ;   in Loop: Header=BB4_681 Depth=2
	s_delay_alu instid0(SALU_CYCLE_1)
	s_or_b32 exec_lo, exec_lo, s21
.LBB4_730:                              ;   in Loop: Header=BB4_681 Depth=2
	s_delay_alu instid0(SALU_CYCLE_1) | instskip(NEXT) | instid1(SALU_CYCLE_1)
	s_or_b32 exec_lo, exec_lo, s20
	s_mov_b32 s20, exec_lo
	v_cmpx_ne_u16_e32 0, v30
	s_cbranch_execz .LBB4_740
; %bb.731:                              ;   in Loop: Header=BB4_681 Depth=2
	v_bfrev_b32_e32 v118, 1
	s_mov_b32 s21, exec_lo
	v_cmpx_ne_u16_e32 0xff80, v30
	s_cbranch_execz .LBB4_739
; %bb.732:                              ;   in Loop: Header=BB4_681 Depth=2
	v_and_b32_e32 v118, 0x7c, v54
	v_and_b32_e32 v3, 3, v54
	s_delay_alu instid0(VALU_DEP_2) | instskip(SKIP_1) | instid1(SALU_CYCLE_1)
	v_cmp_ne_u32_e32 vcc_lo, 0x7c, v118
                                        ; implicit-def: $vgpr118
	s_and_saveexec_b32 s22, vcc_lo
	s_xor_b32 s22, exec_lo, s22
	s_cbranch_execz .LBB4_736
; %bb.733:                              ;   in Loop: Header=BB4_681 Depth=2
	v_bfe_u32 v30, v54, 2, 5
	s_mov_b32 s23, exec_lo
	s_delay_alu instid0(VALU_DEP_1)
	v_cmpx_eq_u32_e32 0, v30
; %bb.734:                              ;   in Loop: Header=BB4_681 Depth=2
	v_clz_i32_u32_e32 v3, v3
	s_delay_alu instid0(VALU_DEP_1) | instskip(NEXT) | instid1(VALU_DEP_1)
	v_min_u32_e32 v3, 32, v3
	v_subrev_nc_u32_e32 v30, 29, v3
	s_delay_alu instid0(VALU_DEP_1) | instskip(NEXT) | instid1(VALU_DEP_1)
	v_lshlrev_b64_e32 v[118:119], v30, v[54:55]
	v_dual_sub_nc_u32 v30, 30, v3 :: v_dual_bitop2_b32 v3, 3, v118 bitop3:0x40
; %bb.735:                              ;   in Loop: Header=BB4_681 Depth=2
	s_or_b32 exec_lo, exec_lo, s23
	v_lshlrev_b32_e32 v118, 24, v54
	s_delay_alu instid0(VALU_DEP_1) | instskip(NEXT) | instid1(VALU_DEP_1)
	v_and_b32_e32 v118, 0x80000000, v118
	v_lshl_add_u32 v30, v30, 23, v118
	s_delay_alu instid0(VALU_DEP_1) | instskip(NEXT) | instid1(VALU_DEP_1)
	v_lshl_or_b32 v3, v3, 21, v30
                                        ; implicit-def: $vgpr30
	v_add_nc_u32_e32 v118, 0x38000000, v3
                                        ; implicit-def: $vgpr3
.LBB4_736:                              ;   in Loop: Header=BB4_681 Depth=2
	s_and_not1_saveexec_b32 s22, s22
; %bb.737:                              ;   in Loop: Header=BB4_681 Depth=2
	v_cmp_lt_i16_e32 vcc_lo, -1, v30
	v_cndmask_b32_e32 v30, 0xff800000, v21, vcc_lo
	v_cmp_eq_u32_e32 vcc_lo, 0, v3
	s_delay_alu instid0(VALU_DEP_2)
	v_cndmask_b32_e32 v118, 0x7f800001, v30, vcc_lo
; %bb.738:                              ;   in Loop: Header=BB4_681 Depth=2
	s_or_b32 exec_lo, exec_lo, s22
.LBB4_739:                              ;   in Loop: Header=BB4_681 Depth=2
	s_delay_alu instid0(SALU_CYCLE_1)
	s_or_b32 exec_lo, exec_lo, s21
.LBB4_740:                              ;   in Loop: Header=BB4_681 Depth=2
	s_delay_alu instid0(SALU_CYCLE_1) | instskip(NEXT) | instid1(VALU_DEP_1)
	s_or_b32 exec_lo, exec_lo, s20
	v_dual_max_num_f32 v3, v118, v118 :: v_dual_max_num_f32 v30, v117, v117
	s_delay_alu instid0(VALU_DEP_1)
	v_min_num_f32_e32 v40, v30, v3
.LBB4_741:                              ;   in Loop: Header=BB4_681 Depth=2
	s_or_b32 exec_lo, exec_lo, s8
	s_delay_alu instid0(VALU_DEP_1) | instskip(SKIP_4) | instid1(VALU_DEP_3)
	v_and_b32_e32 v62, 0x7f800000, v40
	v_dual_mov_b32 v63, v55 :: v_dual_mov_b32 v119, v55
	v_and_b32_e32 v118, 0x7fffff, v40
	v_lshrrev_b32_e32 v3, 24, v40
                                        ; implicit-def: $vgpr117
	s_mov_b32 s8, exec_lo
	v_cmpx_ne_u64_e32 0x7f800000, v[62:63]
	s_xor_b32 s20, exec_lo, s8
	s_cbranch_execz .LBB4_755
; %bb.742:                              ;   in Loop: Header=BB4_681 Depth=2
	v_and_b32_e32 v62, 0x7fffffff, v40
	v_mov_b32_e32 v63, v55
	v_and_b32_e32 v3, 0x80, v3
                                        ; implicit-def: $vgpr117
	s_mov_b32 s8, exec_lo
	s_delay_alu instid0(VALU_DEP_2)
	v_cmpx_gt_u64_e32 0x47600001, v[62:63]
	s_xor_b32 s21, exec_lo, s8
	s_cbranch_execz .LBB4_752
; %bb.743:                              ;   in Loop: Header=BB4_681 Depth=2
	v_mov_b32_e32 v117, 0
	s_mov_b32 s22, exec_lo
	v_cmpx_ne_u32_e32 0, v40
	s_cbranch_execz .LBB4_751
; %bb.744:                              ;   in Loop: Header=BB4_681 Depth=2
	v_bfe_u32 v30, v40, 23, 8
	v_or_b32_e32 v43, 0x800000, v118
	s_delay_alu instid0(VALU_DEP_2) | instskip(SKIP_1) | instid1(VALU_DEP_2)
	v_sub_nc_u32_e32 v117, 0x71, v30
	v_cmp_gt_u32_e32 vcc_lo, 0x72, v30
	v_cndmask_b32_e32 v117, 0, v117, vcc_lo
	v_cmp_eq_u32_e32 vcc_lo, 0, v30
	v_cndmask_b32_e32 v118, v43, v118, vcc_lo
	s_delay_alu instid0(VALU_DEP_3) | instskip(NEXT) | instid1(VALU_DEP_1)
	v_cndmask_b32_e64 v117, v117, 0x70, vcc_lo
	v_dual_add_nc_u32 v40, 21, v117 :: v_dual_add_nc_u32 v44, 20, v117
	s_delay_alu instid0(VALU_DEP_1) | instskip(NEXT) | instid1(VALU_DEP_2)
	v_lshlrev_b64_e64 v[40:41], v40, -1
	v_lshlrev_b64_e64 v[62:63], v44, 1
	s_delay_alu instid0(VALU_DEP_2) | instskip(SKIP_1) | instid1(VALU_DEP_4)
	v_bfi_b32 v40, v40, 0, v118
	v_lshrrev_b64 v[118:119], v117, v[118:119]
	v_bfi_b32 v41, v41, 0, 0
	s_delay_alu instid0(VALU_DEP_1) | instskip(NEXT) | instid1(VALU_DEP_3)
	v_cmp_eq_u64_e64 s8, v[40:41], v[62:63]
	v_mov_b64_e32 v[40:41], v[118:119]
	s_and_saveexec_b32 s23, s8
; %bb.745:                              ;   in Loop: Header=BB4_681 Depth=2
	v_bfe_u32 v40, v118, 21, 1
	v_mov_b32_e32 v41, v55
	s_delay_alu instid0(VALU_DEP_1) | instskip(NEXT) | instid1(VALU_DEP_1)
	v_add_nc_u64_e32 v[40:41], v[118:119], v[40:41]
	v_add_nc_u64_e32 v[40:41], -1, v[40:41]
; %bb.746:                              ;   in Loop: Header=BB4_681 Depth=2
	s_or_b32 exec_lo, exec_lo, s23
	v_add_nc_u32_e32 v30, 0xffffff81, v30
	v_lshrrev_b32_e32 v119, 23, v118
	s_mov_b32 s8, exec_lo
	s_delay_alu instid0(VALU_DEP_2) | instskip(NEXT) | instid1(VALU_DEP_1)
	v_cndmask_b32_e64 v30, v30, 0xffffff82, vcc_lo
	v_add3_u32 v117, v117, v30, v119
	v_and_b32_e32 v30, 0x1fffff, v40
	s_delay_alu instid0(VALU_DEP_2) | instskip(NEXT) | instid1(VALU_DEP_2)
	v_dual_mov_b32 v119, v55 :: v_dual_add_nc_u32 v40, 14, v117
	v_add_nc_u32_e32 v118, v30, v118
                                        ; implicit-def: $vgpr30
	s_delay_alu instid0(VALU_DEP_2)
	v_cmpx_ne_u32_e32 0, v40
	s_xor_b32 s8, exec_lo, s8
; %bb.747:                              ;   in Loop: Header=BB4_681 Depth=2
	s_delay_alu instid0(VALU_DEP_2) | instskip(SKIP_2) | instid1(VALU_DEP_2)
	v_cmp_lt_u64_e32 vcc_lo, 0xffffff, v[118:119]
	v_add_nc_u32_e32 v30, 15, v117
	v_cndmask_b32_e64 v117, 0, 1, vcc_lo
	v_cndmask_b32_e32 v30, v40, v30, vcc_lo
	s_delay_alu instid0(VALU_DEP_2)
	v_lshrrev_b64 v[118:119], v117, v[118:119]
; %bb.748:                              ;   in Loop: Header=BB4_681 Depth=2
	s_and_not1_saveexec_b32 s8, s8
; %bb.749:                              ;   in Loop: Header=BB4_681 Depth=2
	s_delay_alu instid0(VALU_DEP_1)
	v_bfe_u32 v30, v118, 23, 1
; %bb.750:                              ;   in Loop: Header=BB4_681 Depth=2
	s_or_b32 exec_lo, exec_lo, s8
	s_delay_alu instid0(VALU_DEP_2) | instskip(NEXT) | instid1(VALU_DEP_2)
	v_lshrrev_b64 v[118:119], 21, v[118:119]
	v_cmp_gt_i32_e32 vcc_lo, 32, v30
	v_min_i32_e32 v117, 31, v30
	v_cmp_eq_u32_e64 s8, 0, v30
	s_delay_alu instid0(VALU_DEP_2) | instskip(SKIP_1) | instid1(VALU_DEP_2)
	v_dual_cndmask_b32 v119, 0, v119, vcc_lo :: v_dual_lshlrev_b32 v117, 2, v117
	v_cndmask_b32_e32 v118, 3, v118, vcc_lo
	v_and_b32_e32 v117, 0xfc, v117
	s_delay_alu instid0(VALU_DEP_2) | instskip(NEXT) | instid1(VALU_DEP_2)
	v_cmp_eq_u64_e32 vcc_lo, 0, v[118:119]
	v_and_or_b32 v30, v118, 3, v117
	s_and_b32 s8, s8, vcc_lo
	s_delay_alu instid0(VALU_DEP_1) | instid1(SALU_CYCLE_1)
	v_cndmask_b32_e64 v30, v30, 0, s8
	s_delay_alu instid0(VALU_DEP_1)
	v_or_b32_e32 v117, v30, v3
.LBB4_751:                              ;   in Loop: Header=BB4_681 Depth=2
	s_or_b32 exec_lo, exec_lo, s22
                                        ; implicit-def: $vgpr3
.LBB4_752:                              ;   in Loop: Header=BB4_681 Depth=2
	s_and_not1_saveexec_b32 s8, s21
; %bb.753:                              ;   in Loop: Header=BB4_681 Depth=2
	v_or_b32_e32 v117, 0x7b, v3
; %bb.754:                              ;   in Loop: Header=BB4_681 Depth=2
	s_or_b32 exec_lo, exec_lo, s8
                                        ; implicit-def: $vgpr40
                                        ; implicit-def: $vgpr118_vgpr119
                                        ; implicit-def: $vgpr3
.LBB4_755:                              ;   in Loop: Header=BB4_681 Depth=2
	s_and_not1_saveexec_b32 s8, s20
	s_cbranch_execz .LBB4_761
; %bb.756:                              ;   in Loop: Header=BB4_681 Depth=2
	s_mov_b32 s20, exec_lo
                                        ; implicit-def: $vgpr117
	v_cmpx_ne_u64_e32 0, v[118:119]
	s_xor_b32 s20, exec_lo, s20
; %bb.757:                              ;   in Loop: Header=BB4_681 Depth=2
	v_or_b32_e32 v117, 0x7f, v3
                                        ; implicit-def: $vgpr40
; %bb.758:                              ;   in Loop: Header=BB4_681 Depth=2
	s_and_not1_saveexec_b32 s20, s20
; %bb.759:                              ;   in Loop: Header=BB4_681 Depth=2
	v_cmp_lt_i32_e32 vcc_lo, -1, v40
	v_cndmask_b32_e32 v117, 0xfc, v58, vcc_lo
; %bb.760:                              ;   in Loop: Header=BB4_681 Depth=2
	s_or_b32 exec_lo, exec_lo, s20
.LBB4_761:                              ;   in Loop: Header=BB4_681 Depth=2
	s_delay_alu instid0(SALU_CYCLE_1) | instskip(SKIP_2) | instid1(VALU_DEP_2)
	s_or_b32 exec_lo, exec_lo, s8
	v_lshrrev_b16 v40, 8, v2
	v_lshrrev_b16 v118, 8, v54
                                        ; implicit-def: $vgpr30
	v_and_b32_e32 v119, 0xffff, v40
	v_cmp_ne_u16_e32 vcc_lo, 0, v40
	s_and_saveexec_b32 s8, s6
	s_delay_alu instid0(SALU_CYCLE_1)
	s_xor_b32 s20, exec_lo, s8
	s_cbranch_execz .LBB4_783
; %bb.762:                              ;   in Loop: Header=BB4_681 Depth=2
	v_dual_mov_b32 v30, 0 :: v_dual_mov_b32 v3, 0
	s_and_saveexec_b32 s21, vcc_lo
	s_cbranch_execz .LBB4_772
; %bb.763:                              ;   in Loop: Header=BB4_681 Depth=2
	v_bfrev_b32_e32 v3, 1
	s_mov_b32 s22, exec_lo
	v_cmpx_ne_u16_e32 0x80, v40
	s_cbranch_execz .LBB4_771
; %bb.764:                              ;   in Loop: Header=BB4_681 Depth=2
	v_and_b32_e32 v3, 0x7c, v119
	v_and_b32_e32 v41, 3, v119
	s_delay_alu instid0(VALU_DEP_2) | instskip(SKIP_1) | instid1(SALU_CYCLE_1)
	v_cmp_ne_u32_e64 s8, 0x7c, v3
                                        ; implicit-def: $vgpr3
	s_and_saveexec_b32 s23, s8
	s_xor_b32 s23, exec_lo, s23
	s_cbranch_execz .LBB4_768
; %bb.765:                              ;   in Loop: Header=BB4_681 Depth=2
	v_bfe_u32 v3, v119, 2, 5
	s_mov_b32 s24, exec_lo
	s_delay_alu instid0(VALU_DEP_1)
	v_cmpx_eq_u32_e32 0, v3
	s_cbranch_execz .LBB4_767
; %bb.766:                              ;   in Loop: Header=BB4_681 Depth=2
	v_clz_i32_u32_e32 v3, v41
	s_delay_alu instid0(VALU_DEP_1) | instskip(SKIP_1) | instid1(VALU_DEP_2)
	v_min_u32_e32 v3, 32, v3
	v_mov_b32_e32 v41, v55
	v_subrev_nc_u32_e32 v119, 29, v3
	v_sub_nc_u32_e32 v3, 30, v3
	s_delay_alu instid0(VALU_DEP_2) | instskip(NEXT) | instid1(VALU_DEP_1)
	v_lshlrev_b64_e32 v[40:41], v119, v[40:41]
	v_and_b32_e32 v41, 3, v40
.LBB4_767:                              ;   in Loop: Header=BB4_681 Depth=2
	s_or_b32 exec_lo, exec_lo, s24
	v_lshlrev_b32_e32 v119, 16, v2
	s_delay_alu instid0(VALU_DEP_1) | instskip(NEXT) | instid1(VALU_DEP_1)
	v_and_b32_e32 v119, 0x80000000, v119
	v_lshl_add_u32 v3, v3, 23, v119
	s_delay_alu instid0(VALU_DEP_1) | instskip(NEXT) | instid1(VALU_DEP_1)
	v_lshl_or_b32 v3, v41, 21, v3
                                        ; implicit-def: $vgpr41
	v_add_nc_u32_e32 v3, 0x38000000, v3
.LBB4_768:                              ;   in Loop: Header=BB4_681 Depth=2
	s_and_not1_saveexec_b32 s23, s23
; %bb.769:                              ;   in Loop: Header=BB4_681 Depth=2
	v_cmp_lt_i16_e64 s8, -1, v2
	s_delay_alu instid0(VALU_DEP_1) | instskip(SKIP_1) | instid1(VALU_DEP_1)
	v_cndmask_b32_e64 v3, 0xff800000, v21, s8
	v_cmp_eq_u32_e64 s8, 0, v41
	v_cndmask_b32_e64 v3, 0x7f800001, v3, s8
; %bb.770:                              ;   in Loop: Header=BB4_681 Depth=2
	s_or_b32 exec_lo, exec_lo, s23
.LBB4_771:                              ;   in Loop: Header=BB4_681 Depth=2
	s_delay_alu instid0(SALU_CYCLE_1)
	s_or_b32 exec_lo, exec_lo, s22
.LBB4_772:                              ;   in Loop: Header=BB4_681 Depth=2
	s_delay_alu instid0(SALU_CYCLE_1) | instskip(NEXT) | instid1(SALU_CYCLE_1)
	s_or_b32 exec_lo, exec_lo, s21
	s_mov_b32 s21, exec_lo
	v_cmpx_ne_u16_e32 0, v118
	s_cbranch_execz .LBB4_782
; %bb.773:                              ;   in Loop: Header=BB4_681 Depth=2
	v_bfrev_b32_e32 v30, 1
	s_mov_b32 s22, exec_lo
	v_cmpx_ne_u16_e32 0x80, v118
	s_cbranch_execz .LBB4_781
; %bb.774:                              ;   in Loop: Header=BB4_681 Depth=2
	v_and_b32_e32 v40, 0xffff, v118
	s_delay_alu instid0(VALU_DEP_1) | instskip(SKIP_1) | instid1(VALU_DEP_2)
	v_and_b32_e32 v30, 0x7c, v40
	v_and_b32_e32 v119, 3, v40
	v_cmp_ne_u32_e64 s8, 0x7c, v30
                                        ; implicit-def: $vgpr30
	s_and_saveexec_b32 s23, s8
	s_delay_alu instid0(SALU_CYCLE_1)
	s_xor_b32 s23, exec_lo, s23
	s_cbranch_execz .LBB4_778
; %bb.775:                              ;   in Loop: Header=BB4_681 Depth=2
	v_bfe_u32 v30, v40, 2, 5
	s_mov_b32 s24, exec_lo
	s_delay_alu instid0(VALU_DEP_1)
	v_cmpx_eq_u32_e32 0, v30
	s_cbranch_execz .LBB4_777
; %bb.776:                              ;   in Loop: Header=BB4_681 Depth=2
	v_clz_i32_u32_e32 v30, v119
	s_delay_alu instid0(VALU_DEP_1) | instskip(SKIP_1) | instid1(VALU_DEP_2)
	v_min_u32_e32 v30, 32, v30
	v_mov_b32_e32 v119, v55
	v_subrev_nc_u32_e32 v40, 29, v30
	v_sub_nc_u32_e32 v30, 30, v30
	s_delay_alu instid0(VALU_DEP_2) | instskip(NEXT) | instid1(VALU_DEP_1)
	v_lshlrev_b64_e32 v[118:119], v40, v[118:119]
	v_and_b32_e32 v119, 3, v118
.LBB4_777:                              ;   in Loop: Header=BB4_681 Depth=2
	s_or_b32 exec_lo, exec_lo, s24
	v_lshlrev_b32_e32 v118, 16, v54
	s_delay_alu instid0(VALU_DEP_1) | instskip(NEXT) | instid1(VALU_DEP_1)
	v_and_b32_e32 v118, 0x80000000, v118
	v_lshl_add_u32 v30, v30, 23, v118
	s_delay_alu instid0(VALU_DEP_1) | instskip(NEXT) | instid1(VALU_DEP_1)
	v_lshl_or_b32 v30, v119, 21, v30
                                        ; implicit-def: $vgpr119
	v_add_nc_u32_e32 v30, 0x38000000, v30
.LBB4_778:                              ;   in Loop: Header=BB4_681 Depth=2
	s_and_not1_saveexec_b32 s23, s23
; %bb.779:                              ;   in Loop: Header=BB4_681 Depth=2
	v_cmp_lt_i16_e64 s8, -1, v54
	s_delay_alu instid0(VALU_DEP_1) | instskip(SKIP_1) | instid1(VALU_DEP_1)
	v_cndmask_b32_e64 v30, 0xff800000, v21, s8
	v_cmp_eq_u32_e64 s8, 0, v119
	v_cndmask_b32_e64 v30, 0x7f800001, v30, s8
; %bb.780:                              ;   in Loop: Header=BB4_681 Depth=2
	s_or_b32 exec_lo, exec_lo, s23
.LBB4_781:                              ;   in Loop: Header=BB4_681 Depth=2
	s_delay_alu instid0(SALU_CYCLE_1)
	s_or_b32 exec_lo, exec_lo, s22
.LBB4_782:                              ;   in Loop: Header=BB4_681 Depth=2
	s_delay_alu instid0(SALU_CYCLE_1) | instskip(NEXT) | instid1(VALU_DEP_1)
	s_or_b32 exec_lo, exec_lo, s21
	v_dual_max_num_f32 v30, v30, v30 :: v_dual_max_num_f32 v3, v3, v3
                                        ; implicit-def: $vgpr118
                                        ; implicit-def: $vgpr40
                                        ; implicit-def: $vgpr119
	s_delay_alu instid0(VALU_DEP_1)
	v_max_num_f32_e32 v30, v3, v30
.LBB4_783:                              ;   in Loop: Header=BB4_681 Depth=2
	s_and_not1_saveexec_b32 s8, s20
	s_cbranch_execz .LBB4_805
; %bb.784:                              ;   in Loop: Header=BB4_681 Depth=2
	v_dual_mov_b32 v30, 0 :: v_dual_mov_b32 v3, 0
	s_and_saveexec_b32 s20, vcc_lo
	s_cbranch_execz .LBB4_794
; %bb.785:                              ;   in Loop: Header=BB4_681 Depth=2
	v_bfrev_b32_e32 v3, 1
	s_mov_b32 s21, exec_lo
	v_cmpx_ne_u16_e32 0x80, v40
	s_cbranch_execz .LBB4_793
; %bb.786:                              ;   in Loop: Header=BB4_681 Depth=2
	v_and_b32_e32 v3, 0x7c, v119
	v_and_b32_e32 v41, 3, v119
	s_delay_alu instid0(VALU_DEP_2) | instskip(SKIP_1) | instid1(SALU_CYCLE_1)
	v_cmp_ne_u32_e32 vcc_lo, 0x7c, v3
                                        ; implicit-def: $vgpr3
	s_and_saveexec_b32 s22, vcc_lo
	s_xor_b32 s22, exec_lo, s22
	s_cbranch_execz .LBB4_790
; %bb.787:                              ;   in Loop: Header=BB4_681 Depth=2
	v_bfe_u32 v3, v119, 2, 5
	s_mov_b32 s23, exec_lo
	s_delay_alu instid0(VALU_DEP_1)
	v_cmpx_eq_u32_e32 0, v3
	s_cbranch_execz .LBB4_789
; %bb.788:                              ;   in Loop: Header=BB4_681 Depth=2
	v_clz_i32_u32_e32 v3, v41
	s_delay_alu instid0(VALU_DEP_1) | instskip(SKIP_1) | instid1(VALU_DEP_2)
	v_min_u32_e32 v3, 32, v3
	v_mov_b32_e32 v41, v55
	v_subrev_nc_u32_e32 v119, 29, v3
	v_sub_nc_u32_e32 v3, 30, v3
	s_delay_alu instid0(VALU_DEP_2) | instskip(NEXT) | instid1(VALU_DEP_1)
	v_lshlrev_b64_e32 v[40:41], v119, v[40:41]
	v_and_b32_e32 v41, 3, v40
.LBB4_789:                              ;   in Loop: Header=BB4_681 Depth=2
	s_or_b32 exec_lo, exec_lo, s23
	v_lshlrev_b32_e32 v119, 16, v2
	s_delay_alu instid0(VALU_DEP_1) | instskip(NEXT) | instid1(VALU_DEP_1)
	v_and_b32_e32 v119, 0x80000000, v119
	v_lshl_add_u32 v3, v3, 23, v119
	s_delay_alu instid0(VALU_DEP_1) | instskip(NEXT) | instid1(VALU_DEP_1)
	v_lshl_or_b32 v3, v41, 21, v3
                                        ; implicit-def: $vgpr41
	v_add_nc_u32_e32 v3, 0x38000000, v3
.LBB4_790:                              ;   in Loop: Header=BB4_681 Depth=2
	s_and_not1_saveexec_b32 s22, s22
; %bb.791:                              ;   in Loop: Header=BB4_681 Depth=2
	v_cmp_lt_i16_e32 vcc_lo, -1, v2
	v_cndmask_b32_e32 v3, 0xff800000, v21, vcc_lo
	v_cmp_eq_u32_e32 vcc_lo, 0, v41
	s_delay_alu instid0(VALU_DEP_2)
	v_cndmask_b32_e32 v3, 0x7f800001, v3, vcc_lo
; %bb.792:                              ;   in Loop: Header=BB4_681 Depth=2
	s_or_b32 exec_lo, exec_lo, s22
.LBB4_793:                              ;   in Loop: Header=BB4_681 Depth=2
	s_delay_alu instid0(SALU_CYCLE_1)
	s_or_b32 exec_lo, exec_lo, s21
.LBB4_794:                              ;   in Loop: Header=BB4_681 Depth=2
	s_delay_alu instid0(SALU_CYCLE_1) | instskip(NEXT) | instid1(SALU_CYCLE_1)
	s_or_b32 exec_lo, exec_lo, s20
	s_mov_b32 s20, exec_lo
	v_cmpx_ne_u16_e32 0, v118
	s_cbranch_execz .LBB4_804
; %bb.795:                              ;   in Loop: Header=BB4_681 Depth=2
	v_bfrev_b32_e32 v30, 1
	s_mov_b32 s21, exec_lo
	v_cmpx_ne_u16_e32 0x80, v118
	s_cbranch_execz .LBB4_803
; %bb.796:                              ;   in Loop: Header=BB4_681 Depth=2
	v_and_b32_e32 v40, 0xffff, v118
	s_delay_alu instid0(VALU_DEP_1) | instskip(SKIP_1) | instid1(VALU_DEP_2)
	v_and_b32_e32 v30, 0x7c, v40
	v_and_b32_e32 v119, 3, v40
	v_cmp_ne_u32_e32 vcc_lo, 0x7c, v30
                                        ; implicit-def: $vgpr30
	s_and_saveexec_b32 s22, vcc_lo
	s_delay_alu instid0(SALU_CYCLE_1)
	s_xor_b32 s22, exec_lo, s22
	s_cbranch_execz .LBB4_800
; %bb.797:                              ;   in Loop: Header=BB4_681 Depth=2
	v_bfe_u32 v30, v40, 2, 5
	s_mov_b32 s23, exec_lo
	s_delay_alu instid0(VALU_DEP_1)
	v_cmpx_eq_u32_e32 0, v30
	s_cbranch_execz .LBB4_799
; %bb.798:                              ;   in Loop: Header=BB4_681 Depth=2
	v_clz_i32_u32_e32 v30, v119
	s_delay_alu instid0(VALU_DEP_1) | instskip(SKIP_1) | instid1(VALU_DEP_2)
	v_min_u32_e32 v30, 32, v30
	v_mov_b32_e32 v119, v55
	v_subrev_nc_u32_e32 v40, 29, v30
	v_sub_nc_u32_e32 v30, 30, v30
	s_delay_alu instid0(VALU_DEP_2) | instskip(NEXT) | instid1(VALU_DEP_1)
	v_lshlrev_b64_e32 v[118:119], v40, v[118:119]
	v_and_b32_e32 v119, 3, v118
.LBB4_799:                              ;   in Loop: Header=BB4_681 Depth=2
	s_or_b32 exec_lo, exec_lo, s23
	v_lshlrev_b32_e32 v118, 16, v54
	s_delay_alu instid0(VALU_DEP_1) | instskip(NEXT) | instid1(VALU_DEP_1)
	v_and_b32_e32 v118, 0x80000000, v118
	v_lshl_add_u32 v30, v30, 23, v118
	s_delay_alu instid0(VALU_DEP_1) | instskip(NEXT) | instid1(VALU_DEP_1)
	v_lshl_or_b32 v30, v119, 21, v30
                                        ; implicit-def: $vgpr119
	v_add_nc_u32_e32 v30, 0x38000000, v30
.LBB4_800:                              ;   in Loop: Header=BB4_681 Depth=2
	s_and_not1_saveexec_b32 s22, s22
; %bb.801:                              ;   in Loop: Header=BB4_681 Depth=2
	v_cmp_lt_i16_e32 vcc_lo, -1, v54
	v_cndmask_b32_e32 v30, 0xff800000, v21, vcc_lo
	v_cmp_eq_u32_e32 vcc_lo, 0, v119
	s_delay_alu instid0(VALU_DEP_2)
	v_cndmask_b32_e32 v30, 0x7f800001, v30, vcc_lo
; %bb.802:                              ;   in Loop: Header=BB4_681 Depth=2
	s_or_b32 exec_lo, exec_lo, s22
.LBB4_803:                              ;   in Loop: Header=BB4_681 Depth=2
	s_delay_alu instid0(SALU_CYCLE_1)
	s_or_b32 exec_lo, exec_lo, s21
.LBB4_804:                              ;   in Loop: Header=BB4_681 Depth=2
	s_delay_alu instid0(SALU_CYCLE_1) | instskip(NEXT) | instid1(VALU_DEP_1)
	s_or_b32 exec_lo, exec_lo, s20
	v_dual_max_num_f32 v30, v30, v30 :: v_dual_max_num_f32 v3, v3, v3
	s_delay_alu instid0(VALU_DEP_1)
	v_min_num_f32_e32 v30, v3, v30
.LBB4_805:                              ;   in Loop: Header=BB4_681 Depth=2
	s_or_b32 exec_lo, exec_lo, s8
	s_delay_alu instid0(VALU_DEP_1) | instskip(SKIP_4) | instid1(VALU_DEP_3)
	v_and_b32_e32 v40, 0x7f800000, v30
	v_dual_mov_b32 v41, v55 :: v_dual_mov_b32 v119, v55
	v_and_b32_e32 v118, 0x7fffff, v30
	v_lshrrev_b32_e32 v3, 24, v30
                                        ; implicit-def: $vgpr43
	s_mov_b32 s8, exec_lo
	v_cmpx_ne_u64_e32 0x7f800000, v[40:41]
	s_xor_b32 s20, exec_lo, s8
	s_cbranch_execz .LBB4_819
; %bb.806:                              ;   in Loop: Header=BB4_681 Depth=2
	v_and_b32_e32 v40, 0x7fffffff, v30
	v_mov_b32_e32 v41, v55
	v_and_b32_e32 v3, 0x80, v3
                                        ; implicit-def: $vgpr43
	s_mov_b32 s8, exec_lo
	s_delay_alu instid0(VALU_DEP_2)
	v_cmpx_gt_u64_e32 0x47600001, v[40:41]
	s_xor_b32 s21, exec_lo, s8
	s_cbranch_execz .LBB4_816
; %bb.807:                              ;   in Loop: Header=BB4_681 Depth=2
	v_mov_b32_e32 v43, 0
	s_mov_b32 s22, exec_lo
	v_cmpx_ne_u32_e32 0, v30
	s_cbranch_execz .LBB4_815
; %bb.808:                              ;   in Loop: Header=BB4_681 Depth=2
	v_bfe_u32 v30, v30, 23, 8
	v_or_b32_e32 v44, 0x800000, v118
	s_delay_alu instid0(VALU_DEP_2) | instskip(SKIP_1) | instid1(VALU_DEP_2)
	v_sub_nc_u32_e32 v40, 0x71, v30
	v_cmp_gt_u32_e32 vcc_lo, 0x72, v30
	v_cndmask_b32_e32 v40, 0, v40, vcc_lo
	v_cmp_eq_u32_e32 vcc_lo, 0, v30
	s_delay_alu instid0(VALU_DEP_2) | instskip(NEXT) | instid1(VALU_DEP_1)
	v_cndmask_b32_e64 v43, v40, 0x70, vcc_lo
	v_dual_cndmask_b32 v118, v44, v118, vcc_lo :: v_dual_add_nc_u32 v40, 21, v43
	v_add_nc_u32_e32 v47, 20, v43
	s_delay_alu instid0(VALU_DEP_2) | instskip(NEXT) | instid1(VALU_DEP_2)
	v_lshlrev_b64_e64 v[40:41], v40, -1
	v_lshlrev_b64_e64 v[62:63], v47, 1
	s_delay_alu instid0(VALU_DEP_2) | instskip(SKIP_1) | instid1(VALU_DEP_4)
	v_bfi_b32 v40, v40, 0, v118
	v_lshrrev_b64 v[118:119], v43, v[118:119]
	v_bfi_b32 v41, v41, 0, 0
	s_delay_alu instid0(VALU_DEP_1) | instskip(NEXT) | instid1(VALU_DEP_3)
	v_cmp_eq_u64_e64 s8, v[40:41], v[62:63]
	v_mov_b64_e32 v[40:41], v[118:119]
	s_and_saveexec_b32 s23, s8
; %bb.809:                              ;   in Loop: Header=BB4_681 Depth=2
	v_bfe_u32 v40, v118, 21, 1
	v_mov_b32_e32 v41, v55
	s_delay_alu instid0(VALU_DEP_1) | instskip(NEXT) | instid1(VALU_DEP_1)
	v_add_nc_u64_e32 v[40:41], v[118:119], v[40:41]
	v_add_nc_u64_e32 v[40:41], -1, v[40:41]
; %bb.810:                              ;   in Loop: Header=BB4_681 Depth=2
	s_or_b32 exec_lo, exec_lo, s23
	v_add_nc_u32_e32 v30, 0xffffff81, v30
	v_lshrrev_b32_e32 v119, 23, v118
	s_mov_b32 s8, exec_lo
	s_delay_alu instid0(VALU_DEP_2) | instskip(NEXT) | instid1(VALU_DEP_1)
	v_cndmask_b32_e64 v30, v30, 0xffffff82, vcc_lo
	v_add3_u32 v41, v43, v30, v119
	v_and_b32_e32 v30, 0x1fffff, v40
	s_delay_alu instid0(VALU_DEP_2) | instskip(NEXT) | instid1(VALU_DEP_2)
	v_dual_mov_b32 v119, v55 :: v_dual_add_nc_u32 v40, 14, v41
	v_add_nc_u32_e32 v118, v30, v118
                                        ; implicit-def: $vgpr30
	s_delay_alu instid0(VALU_DEP_2)
	v_cmpx_ne_u32_e32 0, v40
	s_xor_b32 s8, exec_lo, s8
; %bb.811:                              ;   in Loop: Header=BB4_681 Depth=2
	s_delay_alu instid0(VALU_DEP_2) | instskip(SKIP_1) | instid1(VALU_DEP_1)
	v_cmp_lt_u64_e32 vcc_lo, 0xffffff, v[118:119]
	v_add_nc_u32_e32 v30, 15, v41
	v_cndmask_b32_e32 v30, v40, v30, vcc_lo
	v_cndmask_b32_e64 v40, 0, 1, vcc_lo
	s_delay_alu instid0(VALU_DEP_1)
	v_lshrrev_b64 v[118:119], v40, v[118:119]
; %bb.812:                              ;   in Loop: Header=BB4_681 Depth=2
	s_and_not1_saveexec_b32 s8, s8
; %bb.813:                              ;   in Loop: Header=BB4_681 Depth=2
	s_delay_alu instid0(VALU_DEP_1)
	v_bfe_u32 v30, v118, 23, 1
; %bb.814:                              ;   in Loop: Header=BB4_681 Depth=2
	s_or_b32 exec_lo, exec_lo, s8
	s_delay_alu instid0(VALU_DEP_2) | instskip(NEXT) | instid1(VALU_DEP_2)
	v_lshrrev_b64 v[118:119], 21, v[118:119]
	v_cmp_gt_i32_e32 vcc_lo, 32, v30
	v_min_i32_e32 v40, 31, v30
	v_cmp_eq_u32_e64 s8, 0, v30
	s_delay_alu instid0(VALU_DEP_2) | instskip(SKIP_1) | instid1(VALU_DEP_2)
	v_dual_cndmask_b32 v119, 0, v119 :: v_dual_lshlrev_b32 v40, 2, v40
	v_cndmask_b32_e32 v118, 3, v118, vcc_lo
	v_and_b32_e32 v40, 0xfc, v40
	s_delay_alu instid0(VALU_DEP_2) | instskip(NEXT) | instid1(VALU_DEP_2)
	v_cmp_eq_u64_e32 vcc_lo, 0, v[118:119]
	v_and_or_b32 v30, v118, 3, v40
	s_and_b32 s8, s8, vcc_lo
	s_delay_alu instid0(VALU_DEP_1) | instid1(SALU_CYCLE_1)
	v_cndmask_b32_e64 v30, v30, 0, s8
	s_delay_alu instid0(VALU_DEP_1)
	v_or_b32_e32 v43, v30, v3
.LBB4_815:                              ;   in Loop: Header=BB4_681 Depth=2
	s_or_b32 exec_lo, exec_lo, s22
                                        ; implicit-def: $vgpr3
.LBB4_816:                              ;   in Loop: Header=BB4_681 Depth=2
	s_and_not1_saveexec_b32 s8, s21
; %bb.817:                              ;   in Loop: Header=BB4_681 Depth=2
	v_or_b32_e32 v43, 0x7b, v3
; %bb.818:                              ;   in Loop: Header=BB4_681 Depth=2
	s_or_b32 exec_lo, exec_lo, s8
                                        ; implicit-def: $vgpr30
                                        ; implicit-def: $vgpr118_vgpr119
                                        ; implicit-def: $vgpr3
.LBB4_819:                              ;   in Loop: Header=BB4_681 Depth=2
	s_and_not1_saveexec_b32 s8, s20
	s_cbranch_execz .LBB4_825
; %bb.820:                              ;   in Loop: Header=BB4_681 Depth=2
	s_mov_b32 s20, exec_lo
                                        ; implicit-def: $vgpr43
	v_cmpx_ne_u64_e32 0, v[118:119]
	s_xor_b32 s20, exec_lo, s20
; %bb.821:                              ;   in Loop: Header=BB4_681 Depth=2
	v_or_b32_e32 v43, 0x7f, v3
                                        ; implicit-def: $vgpr30
; %bb.822:                              ;   in Loop: Header=BB4_681 Depth=2
	s_and_not1_saveexec_b32 s20, s20
; %bb.823:                              ;   in Loop: Header=BB4_681 Depth=2
	v_cmp_lt_i32_e32 vcc_lo, -1, v30
	v_cndmask_b32_e32 v43, 0xfc, v58, vcc_lo
; %bb.824:                              ;   in Loop: Header=BB4_681 Depth=2
	s_or_b32 exec_lo, exec_lo, s20
.LBB4_825:                              ;   in Loop: Header=BB4_681 Depth=2
	s_delay_alu instid0(SALU_CYCLE_1) | instskip(SKIP_2) | instid1(VALU_DEP_2)
	s_or_b32 exec_lo, exec_lo, s8
	v_lshrrev_b32_e32 v118, 16, v2
	v_lshrrev_b32_e32 v30, 16, v54
                                        ; implicit-def: $vgpr40
	v_and_b32_e32 v41, 0xff, v118
	s_delay_alu instid0(VALU_DEP_1) | instskip(SKIP_1) | instid1(SALU_CYCLE_1)
	v_cmp_ne_u16_e32 vcc_lo, 0, v41
	s_and_saveexec_b32 s8, s6
	s_xor_b32 s20, exec_lo, s8
	s_cbranch_execz .LBB4_847
; %bb.826:                              ;   in Loop: Header=BB4_681 Depth=2
	v_dual_mov_b32 v119, 0 :: v_dual_mov_b32 v3, 0
	s_and_saveexec_b32 s21, vcc_lo
	s_cbranch_execz .LBB4_836
; %bb.827:                              ;   in Loop: Header=BB4_681 Depth=2
	v_bfrev_b32_e32 v3, 1
	s_mov_b32 s22, exec_lo
	v_cmpx_ne_u16_e32 0x80, v41
	s_cbranch_execz .LBB4_835
; %bb.828:                              ;   in Loop: Header=BB4_681 Depth=2
	v_and_b32_e32 v3, 0x7c0000, v2
	v_bfe_u32 v40, v2, 16, 2
	s_delay_alu instid0(VALU_DEP_2) | instskip(SKIP_1) | instid1(SALU_CYCLE_1)
	v_cmp_ne_u32_e64 s8, 0x7c0000, v3
                                        ; implicit-def: $vgpr3
	s_and_saveexec_b32 s23, s8
	s_xor_b32 s23, exec_lo, s23
	s_cbranch_execz .LBB4_832
; %bb.829:                              ;   in Loop: Header=BB4_681 Depth=2
	v_bfe_u32 v3, v2, 18, 5
	s_mov_b32 s24, exec_lo
	s_delay_alu instid0(VALU_DEP_1)
	v_cmpx_eq_u32_e32 0, v3
; %bb.830:                              ;   in Loop: Header=BB4_681 Depth=2
	v_clz_i32_u32_e32 v3, v40
	s_delay_alu instid0(VALU_DEP_1) | instskip(NEXT) | instid1(VALU_DEP_1)
	v_min_u32_e32 v3, 32, v3
	v_subrev_nc_u32_e32 v40, 29, v3
	s_delay_alu instid0(VALU_DEP_1) | instskip(NEXT) | instid1(VALU_DEP_1)
	v_lshlrev_b64_e32 v[40:41], v40, v[118:119]
	v_dual_sub_nc_u32 v3, 30, v3 :: v_dual_bitop2_b32 v40, 3, v40 bitop3:0x40
; %bb.831:                              ;   in Loop: Header=BB4_681 Depth=2
	s_or_b32 exec_lo, exec_lo, s24
	v_lshlrev_b32_e32 v118, 24, v118
	s_delay_alu instid0(VALU_DEP_1) | instskip(NEXT) | instid1(VALU_DEP_1)
	v_and_b32_e32 v118, 0x80000000, v118
	v_lshl_add_u32 v3, v3, 23, v118
                                        ; implicit-def: $vgpr118
	s_delay_alu instid0(VALU_DEP_1) | instskip(NEXT) | instid1(VALU_DEP_1)
	v_lshl_or_b32 v3, v40, 21, v3
                                        ; implicit-def: $vgpr40
	v_add_nc_u32_e32 v3, 0x38000000, v3
.LBB4_832:                              ;   in Loop: Header=BB4_681 Depth=2
	s_and_not1_saveexec_b32 s23, s23
; %bb.833:                              ;   in Loop: Header=BB4_681 Depth=2
	v_bfe_i32 v3, v118, 0, 8
	s_delay_alu instid0(VALU_DEP_1) | instskip(NEXT) | instid1(VALU_DEP_1)
	v_cmp_lt_i16_e64 s8, -1, v3
	v_cndmask_b32_e64 v3, 0xff800000, v21, s8
	v_cmp_eq_u32_e64 s8, 0, v40
	s_delay_alu instid0(VALU_DEP_1)
	v_cndmask_b32_e64 v3, 0x7f800001, v3, s8
; %bb.834:                              ;   in Loop: Header=BB4_681 Depth=2
	s_or_b32 exec_lo, exec_lo, s23
.LBB4_835:                              ;   in Loop: Header=BB4_681 Depth=2
	s_delay_alu instid0(SALU_CYCLE_1)
	s_or_b32 exec_lo, exec_lo, s22
.LBB4_836:                              ;   in Loop: Header=BB4_681 Depth=2
	s_delay_alu instid0(SALU_CYCLE_1) | instskip(SKIP_2) | instid1(VALU_DEP_1)
	s_or_b32 exec_lo, exec_lo, s21
	v_lshrrev_b32_e32 v40, 16, v54
	s_mov_b32 s21, exec_lo
	v_and_b32_e32 v118, 0xff, v40
	s_delay_alu instid0(VALU_DEP_1)
	v_cmpx_ne_u16_e32 0, v118
	s_cbranch_execz .LBB4_846
; %bb.837:                              ;   in Loop: Header=BB4_681 Depth=2
	v_bfrev_b32_e32 v119, 1
	s_mov_b32 s22, exec_lo
	v_cmpx_ne_u16_e32 0x80, v118
	s_cbranch_execz .LBB4_845
; %bb.838:                              ;   in Loop: Header=BB4_681 Depth=2
	v_and_b32_e32 v119, 0x7c0000, v54
	v_bfe_u32 v118, v54, 16, 2
	s_delay_alu instid0(VALU_DEP_2) | instskip(SKIP_1) | instid1(SALU_CYCLE_1)
	v_cmp_ne_u32_e64 s8, 0x7c0000, v119
                                        ; implicit-def: $vgpr119
	s_and_saveexec_b32 s23, s8
	s_xor_b32 s23, exec_lo, s23
	s_cbranch_execz .LBB4_842
; %bb.839:                              ;   in Loop: Header=BB4_681 Depth=2
	v_bfe_u32 v119, v54, 18, 5
	s_mov_b32 s24, exec_lo
	s_delay_alu instid0(VALU_DEP_1)
	v_cmpx_eq_u32_e32 0, v119
; %bb.840:                              ;   in Loop: Header=BB4_681 Depth=2
	v_clz_i32_u32_e32 v118, v118
	s_delay_alu instid0(VALU_DEP_1) | instskip(NEXT) | instid1(VALU_DEP_1)
	v_min_u32_e32 v40, 32, v118
	v_subrev_nc_u32_e32 v118, 29, v40
	s_delay_alu instid0(VALU_DEP_1) | instskip(NEXT) | instid1(VALU_DEP_1)
	v_lshlrev_b64_e32 v[118:119], v118, v[30:31]
	v_dual_sub_nc_u32 v119, 30, v40 :: v_dual_bitop2_b32 v118, 3, v118 bitop3:0x40
; %bb.841:                              ;   in Loop: Header=BB4_681 Depth=2
	s_or_b32 exec_lo, exec_lo, s24
	v_lshlrev_b32_e32 v30, 24, v30
                                        ; implicit-def: $vgpr40
	s_delay_alu instid0(VALU_DEP_1) | instskip(NEXT) | instid1(VALU_DEP_1)
	v_and_b32_e32 v30, 0x80000000, v30
	v_lshl_add_u32 v30, v119, 23, v30
	s_delay_alu instid0(VALU_DEP_1) | instskip(NEXT) | instid1(VALU_DEP_1)
	v_lshl_or_b32 v30, v118, 21, v30
                                        ; implicit-def: $vgpr118
	v_add_nc_u32_e32 v119, 0x38000000, v30
.LBB4_842:                              ;   in Loop: Header=BB4_681 Depth=2
	s_and_not1_saveexec_b32 s23, s23
; %bb.843:                              ;   in Loop: Header=BB4_681 Depth=2
	v_bfe_i32 v30, v40, 0, 8
	s_delay_alu instid0(VALU_DEP_1) | instskip(NEXT) | instid1(VALU_DEP_1)
	v_cmp_lt_i16_e64 s8, -1, v30
	v_cndmask_b32_e64 v30, 0xff800000, v21, s8
	v_cmp_eq_u32_e64 s8, 0, v118
	s_delay_alu instid0(VALU_DEP_1)
	v_cndmask_b32_e64 v119, 0x7f800001, v30, s8
; %bb.844:                              ;   in Loop: Header=BB4_681 Depth=2
	s_or_b32 exec_lo, exec_lo, s23
.LBB4_845:                              ;   in Loop: Header=BB4_681 Depth=2
	s_delay_alu instid0(SALU_CYCLE_1)
	s_or_b32 exec_lo, exec_lo, s22
.LBB4_846:                              ;   in Loop: Header=BB4_681 Depth=2
	s_delay_alu instid0(SALU_CYCLE_1) | instskip(NEXT) | instid1(VALU_DEP_1)
	s_or_b32 exec_lo, exec_lo, s21
	v_max_num_f32_e32 v30, v119, v119
	v_max_num_f32_e32 v3, v3, v3
                                        ; implicit-def: $vgpr41
                                        ; implicit-def: $vgpr118
	s_delay_alu instid0(VALU_DEP_1)
	v_max_num_f32_e32 v40, v3, v30
                                        ; implicit-def: $vgpr30
.LBB4_847:                              ;   in Loop: Header=BB4_681 Depth=2
	s_and_not1_saveexec_b32 s8, s20
	s_cbranch_execz .LBB4_869
; %bb.848:                              ;   in Loop: Header=BB4_681 Depth=2
	v_dual_mov_b32 v119, 0 :: v_dual_mov_b32 v3, 0
	s_and_saveexec_b32 s20, vcc_lo
	s_cbranch_execz .LBB4_858
; %bb.849:                              ;   in Loop: Header=BB4_681 Depth=2
	v_bfrev_b32_e32 v3, 1
	s_mov_b32 s21, exec_lo
	v_cmpx_ne_u16_e32 0x80, v41
	s_cbranch_execz .LBB4_857
; %bb.850:                              ;   in Loop: Header=BB4_681 Depth=2
	v_and_b32_e32 v3, 0x7c0000, v2
	v_bfe_u32 v40, v2, 16, 2
	s_delay_alu instid0(VALU_DEP_2) | instskip(SKIP_1) | instid1(SALU_CYCLE_1)
	v_cmp_ne_u32_e32 vcc_lo, 0x7c0000, v3
                                        ; implicit-def: $vgpr3
	s_and_saveexec_b32 s22, vcc_lo
	s_xor_b32 s22, exec_lo, s22
	s_cbranch_execz .LBB4_854
; %bb.851:                              ;   in Loop: Header=BB4_681 Depth=2
	v_bfe_u32 v3, v2, 18, 5
	s_mov_b32 s23, exec_lo
	s_delay_alu instid0(VALU_DEP_1)
	v_cmpx_eq_u32_e32 0, v3
; %bb.852:                              ;   in Loop: Header=BB4_681 Depth=2
	v_clz_i32_u32_e32 v3, v40
	s_delay_alu instid0(VALU_DEP_1) | instskip(NEXT) | instid1(VALU_DEP_1)
	v_min_u32_e32 v3, 32, v3
	v_subrev_nc_u32_e32 v40, 29, v3
	s_delay_alu instid0(VALU_DEP_1) | instskip(NEXT) | instid1(VALU_DEP_1)
	v_lshlrev_b64_e32 v[40:41], v40, v[118:119]
	v_dual_sub_nc_u32 v3, 30, v3 :: v_dual_bitop2_b32 v40, 3, v40 bitop3:0x40
; %bb.853:                              ;   in Loop: Header=BB4_681 Depth=2
	s_or_b32 exec_lo, exec_lo, s23
	v_lshlrev_b32_e32 v118, 24, v118
	s_delay_alu instid0(VALU_DEP_1) | instskip(NEXT) | instid1(VALU_DEP_1)
	v_and_b32_e32 v118, 0x80000000, v118
	v_lshl_add_u32 v3, v3, 23, v118
                                        ; implicit-def: $vgpr118
	s_delay_alu instid0(VALU_DEP_1) | instskip(NEXT) | instid1(VALU_DEP_1)
	v_lshl_or_b32 v3, v40, 21, v3
                                        ; implicit-def: $vgpr40
	v_add_nc_u32_e32 v3, 0x38000000, v3
.LBB4_854:                              ;   in Loop: Header=BB4_681 Depth=2
	s_and_not1_saveexec_b32 s22, s22
; %bb.855:                              ;   in Loop: Header=BB4_681 Depth=2
	v_bfe_i32 v3, v118, 0, 8
	s_delay_alu instid0(VALU_DEP_1) | instskip(SKIP_2) | instid1(VALU_DEP_2)
	v_cmp_lt_i16_e32 vcc_lo, -1, v3
	v_cndmask_b32_e32 v3, 0xff800000, v21, vcc_lo
	v_cmp_eq_u32_e32 vcc_lo, 0, v40
	v_cndmask_b32_e32 v3, 0x7f800001, v3, vcc_lo
; %bb.856:                              ;   in Loop: Header=BB4_681 Depth=2
	s_or_b32 exec_lo, exec_lo, s22
.LBB4_857:                              ;   in Loop: Header=BB4_681 Depth=2
	s_delay_alu instid0(SALU_CYCLE_1)
	s_or_b32 exec_lo, exec_lo, s21
.LBB4_858:                              ;   in Loop: Header=BB4_681 Depth=2
	s_delay_alu instid0(SALU_CYCLE_1) | instskip(SKIP_2) | instid1(VALU_DEP_1)
	s_or_b32 exec_lo, exec_lo, s20
	v_lshrrev_b32_e32 v40, 16, v54
	s_mov_b32 s20, exec_lo
	v_and_b32_e32 v118, 0xff, v40
	s_delay_alu instid0(VALU_DEP_1)
	v_cmpx_ne_u16_e32 0, v118
	s_cbranch_execz .LBB4_868
; %bb.859:                              ;   in Loop: Header=BB4_681 Depth=2
	v_bfrev_b32_e32 v119, 1
	s_mov_b32 s21, exec_lo
	v_cmpx_ne_u16_e32 0x80, v118
	s_cbranch_execz .LBB4_867
; %bb.860:                              ;   in Loop: Header=BB4_681 Depth=2
	v_and_b32_e32 v119, 0x7c0000, v54
	v_bfe_u32 v118, v54, 16, 2
	s_delay_alu instid0(VALU_DEP_2) | instskip(SKIP_1) | instid1(SALU_CYCLE_1)
	v_cmp_ne_u32_e32 vcc_lo, 0x7c0000, v119
                                        ; implicit-def: $vgpr119
	s_and_saveexec_b32 s22, vcc_lo
	s_xor_b32 s22, exec_lo, s22
	s_cbranch_execz .LBB4_864
; %bb.861:                              ;   in Loop: Header=BB4_681 Depth=2
	v_bfe_u32 v119, v54, 18, 5
	s_mov_b32 s23, exec_lo
	s_delay_alu instid0(VALU_DEP_1)
	v_cmpx_eq_u32_e32 0, v119
; %bb.862:                              ;   in Loop: Header=BB4_681 Depth=2
	v_clz_i32_u32_e32 v118, v118
	s_delay_alu instid0(VALU_DEP_1) | instskip(NEXT) | instid1(VALU_DEP_1)
	v_min_u32_e32 v40, 32, v118
	v_subrev_nc_u32_e32 v118, 29, v40
	s_delay_alu instid0(VALU_DEP_1) | instskip(NEXT) | instid1(VALU_DEP_1)
	v_lshlrev_b64_e32 v[118:119], v118, v[30:31]
	v_dual_sub_nc_u32 v119, 30, v40 :: v_dual_bitop2_b32 v118, 3, v118 bitop3:0x40
; %bb.863:                              ;   in Loop: Header=BB4_681 Depth=2
	s_or_b32 exec_lo, exec_lo, s23
	v_lshlrev_b32_e32 v30, 24, v30
                                        ; implicit-def: $vgpr40
	s_delay_alu instid0(VALU_DEP_1) | instskip(NEXT) | instid1(VALU_DEP_1)
	v_and_b32_e32 v30, 0x80000000, v30
	v_lshl_add_u32 v30, v119, 23, v30
	s_delay_alu instid0(VALU_DEP_1) | instskip(NEXT) | instid1(VALU_DEP_1)
	v_lshl_or_b32 v30, v118, 21, v30
                                        ; implicit-def: $vgpr118
	v_add_nc_u32_e32 v119, 0x38000000, v30
.LBB4_864:                              ;   in Loop: Header=BB4_681 Depth=2
	s_and_not1_saveexec_b32 s22, s22
; %bb.865:                              ;   in Loop: Header=BB4_681 Depth=2
	v_bfe_i32 v30, v40, 0, 8
	s_delay_alu instid0(VALU_DEP_1) | instskip(SKIP_2) | instid1(VALU_DEP_2)
	v_cmp_lt_i16_e32 vcc_lo, -1, v30
	v_cndmask_b32_e32 v30, 0xff800000, v21, vcc_lo
	v_cmp_eq_u32_e32 vcc_lo, 0, v118
	v_cndmask_b32_e32 v119, 0x7f800001, v30, vcc_lo
; %bb.866:                              ;   in Loop: Header=BB4_681 Depth=2
	s_or_b32 exec_lo, exec_lo, s22
.LBB4_867:                              ;   in Loop: Header=BB4_681 Depth=2
	s_delay_alu instid0(SALU_CYCLE_1)
	s_or_b32 exec_lo, exec_lo, s21
.LBB4_868:                              ;   in Loop: Header=BB4_681 Depth=2
	s_delay_alu instid0(SALU_CYCLE_1) | instskip(NEXT) | instid1(VALU_DEP_1)
	s_or_b32 exec_lo, exec_lo, s20
	v_max_num_f32_e32 v30, v119, v119
	v_max_num_f32_e32 v3, v3, v3
	s_delay_alu instid0(VALU_DEP_1)
	v_min_num_f32_e32 v40, v3, v30
.LBB4_869:                              ;   in Loop: Header=BB4_681 Depth=2
	s_or_b32 exec_lo, exec_lo, s8
	s_delay_alu instid0(VALU_DEP_1) | instskip(SKIP_4) | instid1(VALU_DEP_3)
	v_and_b32_e32 v62, 0x7f800000, v40
	v_dual_mov_b32 v63, v55 :: v_dual_mov_b32 v119, v55
	v_and_b32_e32 v118, 0x7fffff, v40
	v_lshrrev_b32_e32 v3, 24, v40
                                        ; implicit-def: $vgpr44
	s_mov_b32 s8, exec_lo
	v_cmpx_ne_u64_e32 0x7f800000, v[62:63]
	s_xor_b32 s20, exec_lo, s8
	s_cbranch_execz .LBB4_883
; %bb.870:                              ;   in Loop: Header=BB4_681 Depth=2
	v_and_b32_e32 v62, 0x7fffffff, v40
	v_mov_b32_e32 v63, v55
	v_and_b32_e32 v3, 0x80, v3
                                        ; implicit-def: $vgpr44
	s_mov_b32 s8, exec_lo
	s_delay_alu instid0(VALU_DEP_2)
	v_cmpx_gt_u64_e32 0x47600001, v[62:63]
	s_xor_b32 s21, exec_lo, s8
	s_cbranch_execz .LBB4_880
; %bb.871:                              ;   in Loop: Header=BB4_681 Depth=2
	v_mov_b32_e32 v44, 0
	s_mov_b32 s22, exec_lo
	v_cmpx_ne_u32_e32 0, v40
	s_cbranch_execz .LBB4_879
; %bb.872:                              ;   in Loop: Header=BB4_681 Depth=2
	v_bfe_u32 v30, v40, 23, 8
	v_or_b32_e32 v41, 0x800000, v118
	s_delay_alu instid0(VALU_DEP_2) | instskip(SKIP_2) | instid1(VALU_DEP_2)
	v_cmp_gt_u32_e64 s8, 0x72, v30
	v_sub_nc_u32_e32 v40, 0x71, v30
	v_cmp_eq_u32_e32 vcc_lo, 0, v30
	v_dual_cndmask_b32 v40, 0, v40, s8 :: v_dual_cndmask_b32 v118, v41, v118, vcc_lo
	s_delay_alu instid0(VALU_DEP_1) | instskip(NEXT) | instid1(VALU_DEP_1)
	v_cndmask_b32_e64 v44, v40, 0x70, vcc_lo
	v_dual_add_nc_u32 v40, 21, v44 :: v_dual_add_nc_u32 v47, 20, v44
	s_delay_alu instid0(VALU_DEP_1) | instskip(NEXT) | instid1(VALU_DEP_2)
	v_lshlrev_b64_e64 v[40:41], v40, -1
	v_lshlrev_b64_e64 v[62:63], v47, 1
	s_delay_alu instid0(VALU_DEP_2) | instskip(SKIP_1) | instid1(VALU_DEP_4)
	v_bfi_b32 v40, v40, 0, v118
	v_lshrrev_b64 v[118:119], v44, v[118:119]
	v_bfi_b32 v41, v41, 0, 0
	s_delay_alu instid0(VALU_DEP_1) | instskip(NEXT) | instid1(VALU_DEP_3)
	v_cmp_eq_u64_e64 s8, v[40:41], v[62:63]
	v_mov_b64_e32 v[40:41], v[118:119]
	s_and_saveexec_b32 s23, s8
; %bb.873:                              ;   in Loop: Header=BB4_681 Depth=2
	v_bfe_u32 v40, v118, 21, 1
	v_mov_b32_e32 v41, v55
	s_delay_alu instid0(VALU_DEP_1) | instskip(NEXT) | instid1(VALU_DEP_1)
	v_add_nc_u64_e32 v[40:41], v[118:119], v[40:41]
	v_add_nc_u64_e32 v[40:41], -1, v[40:41]
; %bb.874:                              ;   in Loop: Header=BB4_681 Depth=2
	s_or_b32 exec_lo, exec_lo, s23
	v_add_nc_u32_e32 v30, 0xffffff81, v30
	v_lshrrev_b32_e32 v119, 23, v118
	s_mov_b32 s8, exec_lo
	s_delay_alu instid0(VALU_DEP_2) | instskip(NEXT) | instid1(VALU_DEP_1)
	v_cndmask_b32_e64 v30, v30, 0xffffff82, vcc_lo
	v_add3_u32 v41, v44, v30, v119
	v_and_b32_e32 v30, 0x1fffff, v40
	s_delay_alu instid0(VALU_DEP_2) | instskip(NEXT) | instid1(VALU_DEP_2)
	v_dual_mov_b32 v119, v55 :: v_dual_add_nc_u32 v40, 14, v41
	v_add_nc_u32_e32 v118, v30, v118
                                        ; implicit-def: $vgpr30
	s_delay_alu instid0(VALU_DEP_2)
	v_cmpx_ne_u32_e32 0, v40
	s_xor_b32 s8, exec_lo, s8
; %bb.875:                              ;   in Loop: Header=BB4_681 Depth=2
	s_delay_alu instid0(VALU_DEP_2) | instskip(SKIP_1) | instid1(VALU_DEP_1)
	v_cmp_lt_u64_e32 vcc_lo, 0xffffff, v[118:119]
	v_add_nc_u32_e32 v30, 15, v41
	v_cndmask_b32_e32 v30, v40, v30, vcc_lo
	v_cndmask_b32_e64 v40, 0, 1, vcc_lo
	s_delay_alu instid0(VALU_DEP_1)
	v_lshrrev_b64 v[118:119], v40, v[118:119]
; %bb.876:                              ;   in Loop: Header=BB4_681 Depth=2
	s_and_not1_saveexec_b32 s8, s8
; %bb.877:                              ;   in Loop: Header=BB4_681 Depth=2
	s_delay_alu instid0(VALU_DEP_1)
	v_bfe_u32 v30, v118, 23, 1
; %bb.878:                              ;   in Loop: Header=BB4_681 Depth=2
	s_or_b32 exec_lo, exec_lo, s8
	s_delay_alu instid0(VALU_DEP_2) | instskip(NEXT) | instid1(VALU_DEP_2)
	v_lshrrev_b64 v[118:119], 21, v[118:119]
	v_cmp_gt_i32_e32 vcc_lo, 32, v30
	v_min_i32_e32 v40, 31, v30
	v_cmp_eq_u32_e64 s8, 0, v30
	s_delay_alu instid0(VALU_DEP_2) | instskip(SKIP_1) | instid1(VALU_DEP_2)
	v_dual_cndmask_b32 v119, 0, v119 :: v_dual_lshlrev_b32 v40, 2, v40
	v_cndmask_b32_e32 v118, 3, v118, vcc_lo
	v_and_b32_e32 v40, 0xfc, v40
	s_delay_alu instid0(VALU_DEP_2) | instskip(NEXT) | instid1(VALU_DEP_2)
	v_cmp_eq_u64_e32 vcc_lo, 0, v[118:119]
	v_and_or_b32 v30, v118, 3, v40
	s_and_b32 s8, s8, vcc_lo
	s_delay_alu instid0(VALU_DEP_1) | instid1(SALU_CYCLE_1)
	v_cndmask_b32_e64 v30, v30, 0, s8
	s_delay_alu instid0(VALU_DEP_1)
	v_or_b32_e32 v44, v30, v3
.LBB4_879:                              ;   in Loop: Header=BB4_681 Depth=2
	s_or_b32 exec_lo, exec_lo, s22
                                        ; implicit-def: $vgpr3
.LBB4_880:                              ;   in Loop: Header=BB4_681 Depth=2
	s_and_not1_saveexec_b32 s8, s21
; %bb.881:                              ;   in Loop: Header=BB4_681 Depth=2
	v_or_b32_e32 v44, 0x7b, v3
; %bb.882:                              ;   in Loop: Header=BB4_681 Depth=2
	s_or_b32 exec_lo, exec_lo, s8
                                        ; implicit-def: $vgpr40
                                        ; implicit-def: $vgpr118_vgpr119
                                        ; implicit-def: $vgpr3
.LBB4_883:                              ;   in Loop: Header=BB4_681 Depth=2
	s_and_not1_saveexec_b32 s8, s20
	s_cbranch_execz .LBB4_889
; %bb.884:                              ;   in Loop: Header=BB4_681 Depth=2
	s_mov_b32 s20, exec_lo
                                        ; implicit-def: $vgpr44
	v_cmpx_ne_u64_e32 0, v[118:119]
	s_xor_b32 s20, exec_lo, s20
; %bb.885:                              ;   in Loop: Header=BB4_681 Depth=2
	v_or_b32_e32 v44, 0x7f, v3
                                        ; implicit-def: $vgpr40
; %bb.886:                              ;   in Loop: Header=BB4_681 Depth=2
	s_and_not1_saveexec_b32 s20, s20
; %bb.887:                              ;   in Loop: Header=BB4_681 Depth=2
	v_cmp_lt_i32_e32 vcc_lo, -1, v40
	v_cndmask_b32_e32 v44, 0xfc, v58, vcc_lo
; %bb.888:                              ;   in Loop: Header=BB4_681 Depth=2
	s_or_b32 exec_lo, exec_lo, s20
.LBB4_889:                              ;   in Loop: Header=BB4_681 Depth=2
	s_delay_alu instid0(SALU_CYCLE_1) | instskip(SKIP_4) | instid1(SALU_CYCLE_1)
	s_or_b32 exec_lo, exec_lo, s8
	v_lshrrev_b32_e32 v118, 24, v2
	v_lshrrev_b32_e32 v30, 24, v54
	v_cmp_lt_u32_e32 vcc_lo, 0xffffff, v2
                                        ; implicit-def: $vgpr3
	s_and_saveexec_b32 s8, s6
	s_xor_b32 s20, exec_lo, s8
	s_cbranch_execz .LBB4_911
; %bb.890:                              ;   in Loop: Header=BB4_681 Depth=2
	v_dual_mov_b32 v119, 0 :: v_dual_mov_b32 v3, 0
	s_and_saveexec_b32 s21, vcc_lo
	s_cbranch_execz .LBB4_900
; %bb.891:                              ;   in Loop: Header=BB4_681 Depth=2
	v_bfrev_b32_e32 v3, 1
	s_mov_b32 s22, exec_lo
	v_cmpx_ne_u32_e32 0x80, v118
	s_cbranch_execz .LBB4_899
; %bb.892:                              ;   in Loop: Header=BB4_681 Depth=2
	v_and_b32_e32 v3, 0x7c000000, v2
	v_bfe_u32 v40, v2, 24, 2
	s_delay_alu instid0(VALU_DEP_2) | instskip(SKIP_1) | instid1(SALU_CYCLE_1)
	v_cmp_ne_u32_e64 s8, 0x7c000000, v3
                                        ; implicit-def: $vgpr3
	s_and_saveexec_b32 s23, s8
	s_xor_b32 s23, exec_lo, s23
	s_cbranch_execz .LBB4_896
; %bb.893:                              ;   in Loop: Header=BB4_681 Depth=2
	v_bfe_u32 v3, v2, 26, 5
	s_mov_b32 s24, exec_lo
	s_delay_alu instid0(VALU_DEP_1)
	v_cmpx_eq_u32_e32 0, v3
; %bb.894:                              ;   in Loop: Header=BB4_681 Depth=2
	v_clz_i32_u32_e32 v3, v40
	s_delay_alu instid0(VALU_DEP_1) | instskip(NEXT) | instid1(VALU_DEP_1)
	v_min_u32_e32 v3, 32, v3
	v_subrev_nc_u32_e32 v40, 29, v3
	s_delay_alu instid0(VALU_DEP_1) | instskip(NEXT) | instid1(VALU_DEP_1)
	v_lshlrev_b64_e32 v[40:41], v40, v[118:119]
	v_dual_sub_nc_u32 v3, 30, v3 :: v_dual_bitop2_b32 v40, 3, v40 bitop3:0x40
; %bb.895:                              ;   in Loop: Header=BB4_681 Depth=2
	s_or_b32 exec_lo, exec_lo, s24
	v_and_b32_e32 v2, 0x80000000, v2
	s_delay_alu instid0(VALU_DEP_1) | instskip(NEXT) | instid1(VALU_DEP_1)
	v_lshl_add_u32 v2, v3, 23, v2
	v_lshl_or_b32 v2, v40, 21, v2
                                        ; implicit-def: $vgpr40
	s_delay_alu instid0(VALU_DEP_1)
	v_add_nc_u32_e32 v3, 0x38000000, v2
.LBB4_896:                              ;   in Loop: Header=BB4_681 Depth=2
	s_and_not1_saveexec_b32 s23, s23
; %bb.897:                              ;   in Loop: Header=BB4_681 Depth=2
	v_cmp_lt_i32_e64 s8, -1, v2
	s_delay_alu instid0(VALU_DEP_1) | instskip(SKIP_1) | instid1(VALU_DEP_1)
	v_cndmask_b32_e64 v2, 0xff800000, v21, s8
	v_cmp_eq_u32_e64 s8, 0, v40
	v_cndmask_b32_e64 v3, 0x7f800001, v2, s8
; %bb.898:                              ;   in Loop: Header=BB4_681 Depth=2
	s_or_b32 exec_lo, exec_lo, s23
.LBB4_899:                              ;   in Loop: Header=BB4_681 Depth=2
	s_delay_alu instid0(SALU_CYCLE_1)
	s_or_b32 exec_lo, exec_lo, s22
.LBB4_900:                              ;   in Loop: Header=BB4_681 Depth=2
	s_delay_alu instid0(SALU_CYCLE_1) | instskip(NEXT) | instid1(SALU_CYCLE_1)
	s_or_b32 exec_lo, exec_lo, s21
	s_mov_b32 s21, exec_lo
	v_cmpx_lt_u32_e32 0xffffff, v54
	s_cbranch_execz .LBB4_910
; %bb.901:                              ;   in Loop: Header=BB4_681 Depth=2
	v_bfrev_b32_e32 v119, 1
	s_mov_b32 s22, exec_lo
	v_cmpx_ne_u32_e32 0x80, v30
	s_cbranch_execz .LBB4_909
; %bb.902:                              ;   in Loop: Header=BB4_681 Depth=2
	v_and_b32_e32 v118, 0x7c000000, v54
	v_bfe_u32 v2, v54, 24, 2
	s_mov_b32 s23, exec_lo
                                        ; implicit-def: $vgpr119
	s_delay_alu instid0(VALU_DEP_2)
	v_cmpx_ne_u32_e32 0x7c000000, v118
	s_xor_b32 s23, exec_lo, s23
	s_cbranch_execz .LBB4_906
; %bb.903:                              ;   in Loop: Header=BB4_681 Depth=2
	v_bfe_u32 v118, v54, 26, 5
	s_mov_b32 s24, exec_lo
	s_delay_alu instid0(VALU_DEP_1)
	v_cmpx_eq_u32_e32 0, v118
; %bb.904:                              ;   in Loop: Header=BB4_681 Depth=2
	v_clz_i32_u32_e32 v2, v2
	s_delay_alu instid0(VALU_DEP_1) | instskip(NEXT) | instid1(VALU_DEP_1)
	v_min_u32_e32 v2, 32, v2
	v_subrev_nc_u32_e32 v118, 29, v2
	s_delay_alu instid0(VALU_DEP_1) | instskip(NEXT) | instid1(VALU_DEP_1)
	v_lshlrev_b64_e32 v[40:41], v118, v[30:31]
	v_dual_sub_nc_u32 v118, 30, v2 :: v_dual_bitop2_b32 v2, 3, v40 bitop3:0x40
; %bb.905:                              ;   in Loop: Header=BB4_681 Depth=2
	s_or_b32 exec_lo, exec_lo, s24
	v_and_b32_e32 v30, 0x80000000, v54
	s_delay_alu instid0(VALU_DEP_1) | instskip(NEXT) | instid1(VALU_DEP_1)
	v_lshl_add_u32 v30, v118, 23, v30
	v_lshl_or_b32 v2, v2, 21, v30
	s_delay_alu instid0(VALU_DEP_1)
	v_add_nc_u32_e32 v119, 0x38000000, v2
                                        ; implicit-def: $vgpr2
.LBB4_906:                              ;   in Loop: Header=BB4_681 Depth=2
	s_and_not1_saveexec_b32 s23, s23
; %bb.907:                              ;   in Loop: Header=BB4_681 Depth=2
	v_cmp_lt_i32_e64 s8, -1, v54
	s_delay_alu instid0(VALU_DEP_1) | instskip(SKIP_1) | instid1(VALU_DEP_1)
	v_cndmask_b32_e64 v30, 0xff800000, v21, s8
	v_cmp_eq_u32_e64 s8, 0, v2
	v_cndmask_b32_e64 v119, 0x7f800001, v30, s8
; %bb.908:                              ;   in Loop: Header=BB4_681 Depth=2
	s_or_b32 exec_lo, exec_lo, s23
.LBB4_909:                              ;   in Loop: Header=BB4_681 Depth=2
	s_delay_alu instid0(SALU_CYCLE_1)
	s_or_b32 exec_lo, exec_lo, s22
.LBB4_910:                              ;   in Loop: Header=BB4_681 Depth=2
	s_delay_alu instid0(SALU_CYCLE_1) | instskip(NEXT) | instid1(VALU_DEP_1)
	s_or_b32 exec_lo, exec_lo, s21
	v_max_num_f32_e32 v2, v119, v119
	v_max_num_f32_e32 v3, v3, v3
                                        ; implicit-def: $vgpr30
                                        ; implicit-def: $vgpr118
	s_delay_alu instid0(VALU_DEP_1)
	v_max_num_f32_e32 v3, v3, v2
.LBB4_911:                              ;   in Loop: Header=BB4_681 Depth=2
	s_and_not1_saveexec_b32 s8, s20
	s_cbranch_execz .LBB4_933
; %bb.912:                              ;   in Loop: Header=BB4_681 Depth=2
	v_dual_mov_b32 v119, 0 :: v_dual_mov_b32 v3, 0
	s_and_saveexec_b32 s20, vcc_lo
	s_cbranch_execz .LBB4_922
; %bb.913:                              ;   in Loop: Header=BB4_681 Depth=2
	v_bfrev_b32_e32 v3, 1
	s_mov_b32 s21, exec_lo
	v_cmpx_ne_u32_e32 0x80, v118
	s_cbranch_execz .LBB4_921
; %bb.914:                              ;   in Loop: Header=BB4_681 Depth=2
	v_and_b32_e32 v3, 0x7c000000, v2
	v_bfe_u32 v40, v2, 24, 2
	s_delay_alu instid0(VALU_DEP_2) | instskip(SKIP_1) | instid1(SALU_CYCLE_1)
	v_cmp_ne_u32_e32 vcc_lo, 0x7c000000, v3
                                        ; implicit-def: $vgpr3
	s_and_saveexec_b32 s22, vcc_lo
	s_xor_b32 s22, exec_lo, s22
	s_cbranch_execz .LBB4_918
; %bb.915:                              ;   in Loop: Header=BB4_681 Depth=2
	v_bfe_u32 v3, v2, 26, 5
	s_mov_b32 s23, exec_lo
	s_delay_alu instid0(VALU_DEP_1)
	v_cmpx_eq_u32_e32 0, v3
; %bb.916:                              ;   in Loop: Header=BB4_681 Depth=2
	v_clz_i32_u32_e32 v3, v40
	s_delay_alu instid0(VALU_DEP_1) | instskip(NEXT) | instid1(VALU_DEP_1)
	v_min_u32_e32 v3, 32, v3
	v_subrev_nc_u32_e32 v40, 29, v3
	s_delay_alu instid0(VALU_DEP_1) | instskip(NEXT) | instid1(VALU_DEP_1)
	v_lshlrev_b64_e32 v[40:41], v40, v[118:119]
	v_dual_sub_nc_u32 v3, 30, v3 :: v_dual_bitop2_b32 v40, 3, v40 bitop3:0x40
; %bb.917:                              ;   in Loop: Header=BB4_681 Depth=2
	s_or_b32 exec_lo, exec_lo, s23
	v_and_b32_e32 v2, 0x80000000, v2
	s_delay_alu instid0(VALU_DEP_1) | instskip(NEXT) | instid1(VALU_DEP_1)
	v_lshl_add_u32 v2, v3, 23, v2
	v_lshl_or_b32 v2, v40, 21, v2
                                        ; implicit-def: $vgpr40
	s_delay_alu instid0(VALU_DEP_1)
	v_add_nc_u32_e32 v3, 0x38000000, v2
.LBB4_918:                              ;   in Loop: Header=BB4_681 Depth=2
	s_and_not1_saveexec_b32 s22, s22
; %bb.919:                              ;   in Loop: Header=BB4_681 Depth=2
	v_cmp_lt_i32_e32 vcc_lo, -1, v2
	v_cndmask_b32_e32 v2, 0xff800000, v21, vcc_lo
	v_cmp_eq_u32_e32 vcc_lo, 0, v40
	s_delay_alu instid0(VALU_DEP_2)
	v_cndmask_b32_e32 v3, 0x7f800001, v2, vcc_lo
; %bb.920:                              ;   in Loop: Header=BB4_681 Depth=2
	s_or_b32 exec_lo, exec_lo, s22
.LBB4_921:                              ;   in Loop: Header=BB4_681 Depth=2
	s_delay_alu instid0(SALU_CYCLE_1)
	s_or_b32 exec_lo, exec_lo, s21
.LBB4_922:                              ;   in Loop: Header=BB4_681 Depth=2
	s_delay_alu instid0(SALU_CYCLE_1) | instskip(NEXT) | instid1(SALU_CYCLE_1)
	s_or_b32 exec_lo, exec_lo, s20
	s_mov_b32 s20, exec_lo
	v_cmpx_lt_u32_e32 0xffffff, v54
	s_cbranch_execz .LBB4_932
; %bb.923:                              ;   in Loop: Header=BB4_681 Depth=2
	v_bfrev_b32_e32 v119, 1
	s_mov_b32 s21, exec_lo
	v_cmpx_ne_u32_e32 0x80, v30
	s_cbranch_execz .LBB4_931
; %bb.924:                              ;   in Loop: Header=BB4_681 Depth=2
	v_and_b32_e32 v118, 0x7c000000, v54
	v_bfe_u32 v2, v54, 24, 2
	s_mov_b32 s22, exec_lo
                                        ; implicit-def: $vgpr119
	s_delay_alu instid0(VALU_DEP_2)
	v_cmpx_ne_u32_e32 0x7c000000, v118
	s_xor_b32 s22, exec_lo, s22
	s_cbranch_execz .LBB4_928
; %bb.925:                              ;   in Loop: Header=BB4_681 Depth=2
	v_bfe_u32 v118, v54, 26, 5
	s_mov_b32 s23, exec_lo
	s_delay_alu instid0(VALU_DEP_1)
	v_cmpx_eq_u32_e32 0, v118
; %bb.926:                              ;   in Loop: Header=BB4_681 Depth=2
	v_clz_i32_u32_e32 v2, v2
	s_delay_alu instid0(VALU_DEP_1) | instskip(NEXT) | instid1(VALU_DEP_1)
	v_min_u32_e32 v2, 32, v2
	v_subrev_nc_u32_e32 v118, 29, v2
	s_delay_alu instid0(VALU_DEP_1) | instskip(NEXT) | instid1(VALU_DEP_1)
	v_lshlrev_b64_e32 v[40:41], v118, v[30:31]
	v_dual_sub_nc_u32 v118, 30, v2 :: v_dual_bitop2_b32 v2, 3, v40 bitop3:0x40
; %bb.927:                              ;   in Loop: Header=BB4_681 Depth=2
	s_or_b32 exec_lo, exec_lo, s23
	v_and_b32_e32 v30, 0x80000000, v54
	s_delay_alu instid0(VALU_DEP_1) | instskip(NEXT) | instid1(VALU_DEP_1)
	v_lshl_add_u32 v30, v118, 23, v30
	v_lshl_or_b32 v2, v2, 21, v30
	s_delay_alu instid0(VALU_DEP_1)
	v_add_nc_u32_e32 v119, 0x38000000, v2
                                        ; implicit-def: $vgpr2
.LBB4_928:                              ;   in Loop: Header=BB4_681 Depth=2
	s_and_not1_saveexec_b32 s22, s22
; %bb.929:                              ;   in Loop: Header=BB4_681 Depth=2
	v_cmp_lt_i32_e32 vcc_lo, -1, v54
	v_cndmask_b32_e32 v30, 0xff800000, v21, vcc_lo
	v_cmp_eq_u32_e32 vcc_lo, 0, v2
	s_delay_alu instid0(VALU_DEP_2)
	v_cndmask_b32_e32 v119, 0x7f800001, v30, vcc_lo
; %bb.930:                              ;   in Loop: Header=BB4_681 Depth=2
	s_or_b32 exec_lo, exec_lo, s22
.LBB4_931:                              ;   in Loop: Header=BB4_681 Depth=2
	s_delay_alu instid0(SALU_CYCLE_1)
	s_or_b32 exec_lo, exec_lo, s21
.LBB4_932:                              ;   in Loop: Header=BB4_681 Depth=2
	s_delay_alu instid0(SALU_CYCLE_1) | instskip(NEXT) | instid1(VALU_DEP_1)
	s_or_b32 exec_lo, exec_lo, s20
	v_max_num_f32_e32 v2, v119, v119
	v_max_num_f32_e32 v3, v3, v3
	s_delay_alu instid0(VALU_DEP_1)
	v_min_num_f32_e32 v3, v3, v2
.LBB4_933:                              ;   in Loop: Header=BB4_681 Depth=2
	s_or_b32 exec_lo, exec_lo, s8
	s_delay_alu instid0(VALU_DEP_1) | instskip(SKIP_3) | instid1(VALU_DEP_2)
	v_and_b32_e32 v118, 0x7f800000, v3
	v_dual_mov_b32 v119, v55 :: v_dual_lshrrev_b32 v2, 24, v3
	v_and_b32_e32 v54, 0x7fffff, v3
                                        ; implicit-def: $vgpr47
	s_mov_b32 s8, exec_lo
	v_cmpx_ne_u64_e32 0x7f800000, v[118:119]
	s_xor_b32 s20, exec_lo, s8
	s_cbranch_execz .LBB4_947
; %bb.934:                              ;   in Loop: Header=BB4_681 Depth=2
	v_and_b32_e32 v118, 0x7fffffff, v3
	v_mov_b32_e32 v119, v55
	v_and_b32_e32 v30, 0x80, v2
                                        ; implicit-def: $vgpr47
	s_mov_b32 s8, exec_lo
	s_delay_alu instid0(VALU_DEP_2)
	v_cmpx_gt_u64_e32 0x47600001, v[118:119]
	s_xor_b32 s21, exec_lo, s8
	s_cbranch_execz .LBB4_944
; %bb.935:                              ;   in Loop: Header=BB4_681 Depth=2
	v_mov_b32_e32 v47, 0
	s_mov_b32 s22, exec_lo
	v_cmpx_ne_u32_e32 0, v3
	s_cbranch_execz .LBB4_943
; %bb.936:                              ;   in Loop: Header=BB4_681 Depth=2
	v_bfe_u32 v40, v3, 23, 8
	v_or_b32_e32 v118, 0x800000, v54
	s_delay_alu instid0(VALU_DEP_2) | instskip(SKIP_1) | instid1(VALU_DEP_2)
	v_sub_nc_u32_e32 v2, 0x71, v40
	v_cmp_gt_u32_e32 vcc_lo, 0x72, v40
	v_cndmask_b32_e32 v2, 0, v2, vcc_lo
	v_cmp_eq_u32_e32 vcc_lo, 0, v40
	s_delay_alu instid0(VALU_DEP_2) | instskip(NEXT) | instid1(VALU_DEP_1)
	v_cndmask_b32_e64 v41, v2, 0x70, vcc_lo
	v_dual_cndmask_b32 v54, v118, v54, vcc_lo :: v_dual_add_nc_u32 v2, 21, v41
	v_add_nc_u32_e32 v119, 20, v41
	s_delay_alu instid0(VALU_DEP_2) | instskip(NEXT) | instid1(VALU_DEP_2)
	v_lshlrev_b64_e64 v[2:3], v2, -1
	v_lshlrev_b64_e64 v[118:119], v119, 1
	s_delay_alu instid0(VALU_DEP_2) | instskip(NEXT) | instid1(VALU_DEP_3)
	v_bfi_b32 v63, v3, 0, 0
	v_bfi_b32 v62, v2, 0, v54
	v_lshrrev_b64 v[2:3], v41, v[54:55]
	s_delay_alu instid0(VALU_DEP_2) | instskip(NEXT) | instid1(VALU_DEP_2)
	v_cmp_eq_u64_e64 s8, v[62:63], v[118:119]
	v_mov_b64_e32 v[118:119], v[2:3]
	s_and_saveexec_b32 s23, s8
; %bb.937:                              ;   in Loop: Header=BB4_681 Depth=2
	v_bfe_u32 v54, v2, 21, 1
	s_delay_alu instid0(VALU_DEP_1) | instskip(NEXT) | instid1(VALU_DEP_1)
	v_add_nc_u64_e32 v[118:119], v[2:3], v[54:55]
	v_add_nc_u64_e32 v[118:119], -1, v[118:119]
; %bb.938:                              ;   in Loop: Header=BB4_681 Depth=2
	s_or_b32 exec_lo, exec_lo, s23
	v_add_nc_u32_e32 v3, 0xffffff81, v40
	v_lshrrev_b32_e32 v54, 23, v2
	s_mov_b32 s8, exec_lo
	s_delay_alu instid0(VALU_DEP_2) | instskip(NEXT) | instid1(VALU_DEP_1)
	v_cndmask_b32_e64 v3, v3, 0xffffff82, vcc_lo
	v_add3_u32 v119, v41, v3, v54
	v_and_b32_e32 v3, 0x1fffff, v118
                                        ; implicit-def: $vgpr118
	s_delay_alu instid0(VALU_DEP_1) | instskip(NEXT) | instid1(VALU_DEP_1)
	v_dual_add_nc_u32 v40, 14, v119 :: v_dual_add_nc_u32 v54, v3, v2
                                        ; implicit-def: $vgpr2_vgpr3
	v_cmpx_ne_u32_e32 0, v40
	s_xor_b32 s8, exec_lo, s8
; %bb.939:                              ;   in Loop: Header=BB4_681 Depth=2
	s_delay_alu instid0(VALU_DEP_2) | instskip(SKIP_1) | instid1(VALU_DEP_1)
	v_cmp_lt_u64_e32 vcc_lo, 0xffffff, v[54:55]
	v_add_nc_u32_e32 v2, 15, v119
	v_cndmask_b32_e32 v118, v40, v2, vcc_lo
	v_cndmask_b32_e64 v2, 0, 1, vcc_lo
	s_delay_alu instid0(VALU_DEP_1)
	v_lshrrev_b64 v[2:3], v2, v[54:55]
; %bb.940:                              ;   in Loop: Header=BB4_681 Depth=2
	s_and_not1_saveexec_b32 s8, s8
; %bb.941:                              ;   in Loop: Header=BB4_681 Depth=2
	v_mov_b64_e32 v[2:3], v[54:55]
	v_bfe_u32 v118, v54, 23, 1
; %bb.942:                              ;   in Loop: Header=BB4_681 Depth=2
	s_or_b32 exec_lo, exec_lo, s8
	s_delay_alu instid0(VALU_DEP_2) | instskip(NEXT) | instid1(VALU_DEP_2)
	v_lshrrev_b64 v[2:3], 21, v[2:3]
	v_cmp_gt_i32_e32 vcc_lo, 32, v118
	v_min_i32_e32 v54, 31, v118
	v_cmp_eq_u32_e64 s8, 0, v118
	s_delay_alu instid0(VALU_DEP_2) | instskip(SKIP_1) | instid1(VALU_DEP_2)
	v_dual_cndmask_b32 v3, 0, v3 :: v_dual_lshlrev_b32 v54, 2, v54
	v_cndmask_b32_e32 v2, 3, v2, vcc_lo
	v_and_b32_e32 v54, 0xfc, v54
	s_delay_alu instid0(VALU_DEP_2) | instskip(NEXT) | instid1(VALU_DEP_2)
	v_cmp_eq_u64_e32 vcc_lo, 0, v[2:3]
	v_and_or_b32 v2, v2, 3, v54
	s_and_b32 s8, s8, vcc_lo
	s_delay_alu instid0(VALU_DEP_1) | instid1(SALU_CYCLE_1)
	v_cndmask_b32_e64 v2, v2, 0, s8
	s_delay_alu instid0(VALU_DEP_1)
	v_or_b32_e32 v47, v2, v30
.LBB4_943:                              ;   in Loop: Header=BB4_681 Depth=2
	s_or_b32 exec_lo, exec_lo, s22
                                        ; implicit-def: $vgpr30
.LBB4_944:                              ;   in Loop: Header=BB4_681 Depth=2
	s_and_not1_saveexec_b32 s8, s21
; %bb.945:                              ;   in Loop: Header=BB4_681 Depth=2
	v_or_b32_e32 v47, 0x7b, v30
; %bb.946:                              ;   in Loop: Header=BB4_681 Depth=2
	s_or_b32 exec_lo, exec_lo, s8
                                        ; implicit-def: $vgpr3
                                        ; implicit-def: $vgpr2
.LBB4_947:                              ;   in Loop: Header=BB4_681 Depth=2
	s_and_not1_saveexec_b32 s8, s20
	s_cbranch_execz .LBB4_953
; %bb.948:                              ;   in Loop: Header=BB4_681 Depth=2
	s_mov_b32 s20, exec_lo
                                        ; implicit-def: $vgpr47
	v_cmpx_ne_u64_e32 0, v[54:55]
	s_xor_b32 s20, exec_lo, s20
; %bb.949:                              ;   in Loop: Header=BB4_681 Depth=2
	v_or_b32_e32 v47, 0x7f, v2
                                        ; implicit-def: $vgpr3
; %bb.950:                              ;   in Loop: Header=BB4_681 Depth=2
	s_and_not1_saveexec_b32 s20, s20
; %bb.951:                              ;   in Loop: Header=BB4_681 Depth=2
	v_cmp_lt_i32_e32 vcc_lo, -1, v3
	v_cndmask_b32_e32 v47, 0xfc, v58, vcc_lo
; %bb.952:                              ;   in Loop: Header=BB4_681 Depth=2
	s_or_b32 exec_lo, exec_lo, s20
.LBB4_953:                              ;   in Loop: Header=BB4_681 Depth=2
	s_delay_alu instid0(SALU_CYCLE_1) | instskip(SKIP_3) | instid1(VALU_DEP_3)
	s_or_b32 exec_lo, exec_lo, s8
	v_alignbit_b32 v54, v45, v46, v61
	v_and_b32_e32 v3, 0xff, v4
	v_bfe_i32 v118, v4, 0, 8
                                        ; implicit-def: $vgpr30
	v_bfe_i32 v2, v54, 0, 8
	s_delay_alu instid0(VALU_DEP_3) | instskip(SKIP_1) | instid1(SALU_CYCLE_1)
	v_cmp_ne_u16_e32 vcc_lo, 0, v3
	s_and_saveexec_b32 s8, s6
	s_xor_b32 s20, exec_lo, s8
	s_cbranch_execz .LBB4_975
; %bb.954:                              ;   in Loop: Header=BB4_681 Depth=2
	v_dual_mov_b32 v30, 0 :: v_dual_mov_b32 v3, 0
	s_and_saveexec_b32 s21, vcc_lo
	s_cbranch_execz .LBB4_964
; %bb.955:                              ;   in Loop: Header=BB4_681 Depth=2
	v_bfrev_b32_e32 v3, 1
	s_mov_b32 s22, exec_lo
	v_cmpx_ne_u16_e32 0xff80, v118
	s_cbranch_execz .LBB4_963
; %bb.956:                              ;   in Loop: Header=BB4_681 Depth=2
	v_and_b32_e32 v3, 0x7c, v4
	v_and_b32_e32 v119, 3, v4
	s_delay_alu instid0(VALU_DEP_2) | instskip(SKIP_1) | instid1(SALU_CYCLE_1)
	v_cmp_ne_u32_e64 s8, 0x7c, v3
                                        ; implicit-def: $vgpr3
	s_and_saveexec_b32 s23, s8
	s_xor_b32 s23, exec_lo, s23
	s_cbranch_execz .LBB4_960
; %bb.957:                              ;   in Loop: Header=BB4_681 Depth=2
	v_bfe_u32 v3, v4, 2, 5
	s_mov_b32 s24, exec_lo
	s_delay_alu instid0(VALU_DEP_1)
	v_cmpx_eq_u32_e32 0, v3
; %bb.958:                              ;   in Loop: Header=BB4_681 Depth=2
	v_clz_i32_u32_e32 v3, v119
	s_delay_alu instid0(VALU_DEP_1) | instskip(NEXT) | instid1(VALU_DEP_1)
	v_min_u32_e32 v3, 32, v3
	v_subrev_nc_u32_e32 v118, 29, v3
	s_delay_alu instid0(VALU_DEP_1) | instskip(NEXT) | instid1(VALU_DEP_1)
	v_lshlrev_b64_e32 v[118:119], v118, v[4:5]
	v_dual_sub_nc_u32 v3, 30, v3 :: v_dual_bitop2_b32 v119, 3, v118 bitop3:0x40
; %bb.959:                              ;   in Loop: Header=BB4_681 Depth=2
	s_or_b32 exec_lo, exec_lo, s24
	v_lshlrev_b32_e32 v118, 24, v4
	s_delay_alu instid0(VALU_DEP_1) | instskip(NEXT) | instid1(VALU_DEP_1)
	v_and_b32_e32 v118, 0x80000000, v118
	v_lshl_add_u32 v3, v3, 23, v118
                                        ; implicit-def: $vgpr118
	s_delay_alu instid0(VALU_DEP_1) | instskip(NEXT) | instid1(VALU_DEP_1)
	v_lshl_or_b32 v3, v119, 21, v3
                                        ; implicit-def: $vgpr119
	v_add_nc_u32_e32 v3, 0x38000000, v3
.LBB4_960:                              ;   in Loop: Header=BB4_681 Depth=2
	s_and_not1_saveexec_b32 s23, s23
; %bb.961:                              ;   in Loop: Header=BB4_681 Depth=2
	v_cmp_lt_i16_e64 s8, -1, v118
	s_delay_alu instid0(VALU_DEP_1) | instskip(SKIP_1) | instid1(VALU_DEP_1)
	v_cndmask_b32_e64 v3, 0xff800000, v21, s8
	v_cmp_eq_u32_e64 s8, 0, v119
	v_cndmask_b32_e64 v3, 0x7f800001, v3, s8
; %bb.962:                              ;   in Loop: Header=BB4_681 Depth=2
	s_or_b32 exec_lo, exec_lo, s23
.LBB4_963:                              ;   in Loop: Header=BB4_681 Depth=2
	s_delay_alu instid0(SALU_CYCLE_1)
	s_or_b32 exec_lo, exec_lo, s22
.LBB4_964:                              ;   in Loop: Header=BB4_681 Depth=2
	s_delay_alu instid0(SALU_CYCLE_1) | instskip(NEXT) | instid1(SALU_CYCLE_1)
	s_or_b32 exec_lo, exec_lo, s21
	s_mov_b32 s21, exec_lo
	v_cmpx_ne_u16_e32 0, v2
	s_cbranch_execz .LBB4_974
; %bb.965:                              ;   in Loop: Header=BB4_681 Depth=2
	v_bfrev_b32_e32 v30, 1
	s_mov_b32 s22, exec_lo
	v_cmpx_ne_u16_e32 0xff80, v2
	s_cbranch_execz .LBB4_973
; %bb.966:                              ;   in Loop: Header=BB4_681 Depth=2
	v_and_b32_e32 v30, 0x7c, v54
	v_and_b32_e32 v118, 3, v54
	s_delay_alu instid0(VALU_DEP_2) | instskip(SKIP_1) | instid1(SALU_CYCLE_1)
	v_cmp_ne_u32_e64 s8, 0x7c, v30
                                        ; implicit-def: $vgpr30
	s_and_saveexec_b32 s23, s8
	s_xor_b32 s23, exec_lo, s23
	s_cbranch_execz .LBB4_970
; %bb.967:                              ;   in Loop: Header=BB4_681 Depth=2
	v_bfe_u32 v2, v54, 2, 5
	s_mov_b32 s24, exec_lo
	s_delay_alu instid0(VALU_DEP_1)
	v_cmpx_eq_u32_e32 0, v2
; %bb.968:                              ;   in Loop: Header=BB4_681 Depth=2
	v_clz_i32_u32_e32 v2, v118
	s_delay_alu instid0(VALU_DEP_1) | instskip(NEXT) | instid1(VALU_DEP_1)
	v_min_u32_e32 v2, 32, v2
	v_subrev_nc_u32_e32 v30, 29, v2
	v_sub_nc_u32_e32 v2, 30, v2
	s_delay_alu instid0(VALU_DEP_2) | instskip(NEXT) | instid1(VALU_DEP_1)
	v_lshlrev_b64_e32 v[118:119], v30, v[54:55]
	v_and_b32_e32 v118, 3, v118
; %bb.969:                              ;   in Loop: Header=BB4_681 Depth=2
	s_or_b32 exec_lo, exec_lo, s24
	v_lshlrev_b32_e32 v30, 24, v54
	s_delay_alu instid0(VALU_DEP_1) | instskip(NEXT) | instid1(VALU_DEP_1)
	v_and_b32_e32 v30, 0x80000000, v30
	v_lshl_add_u32 v2, v2, 23, v30
	s_delay_alu instid0(VALU_DEP_1) | instskip(NEXT) | instid1(VALU_DEP_1)
	v_lshl_or_b32 v2, v118, 21, v2
                                        ; implicit-def: $vgpr118
	v_add_nc_u32_e32 v30, 0x38000000, v2
                                        ; implicit-def: $vgpr2
.LBB4_970:                              ;   in Loop: Header=BB4_681 Depth=2
	s_and_not1_saveexec_b32 s23, s23
; %bb.971:                              ;   in Loop: Header=BB4_681 Depth=2
	v_cmp_lt_i16_e64 s8, -1, v2
	s_delay_alu instid0(VALU_DEP_1) | instskip(SKIP_1) | instid1(VALU_DEP_1)
	v_cndmask_b32_e64 v2, 0xff800000, v21, s8
	v_cmp_eq_u32_e64 s8, 0, v118
	v_cndmask_b32_e64 v30, 0x7f800001, v2, s8
; %bb.972:                              ;   in Loop: Header=BB4_681 Depth=2
	s_or_b32 exec_lo, exec_lo, s23
.LBB4_973:                              ;   in Loop: Header=BB4_681 Depth=2
	s_delay_alu instid0(SALU_CYCLE_1)
	s_or_b32 exec_lo, exec_lo, s22
.LBB4_974:                              ;   in Loop: Header=BB4_681 Depth=2
	s_delay_alu instid0(SALU_CYCLE_1) | instskip(NEXT) | instid1(VALU_DEP_1)
	s_or_b32 exec_lo, exec_lo, s21
	v_dual_max_num_f32 v2, v30, v30 :: v_dual_max_num_f32 v3, v3, v3
                                        ; implicit-def: $vgpr118
	s_delay_alu instid0(VALU_DEP_1)
	v_max_num_f32_e32 v30, v3, v2
                                        ; implicit-def: $vgpr2
.LBB4_975:                              ;   in Loop: Header=BB4_681 Depth=2
	s_and_not1_saveexec_b32 s8, s20
	s_cbranch_execz .LBB4_997
; %bb.976:                              ;   in Loop: Header=BB4_681 Depth=2
	v_dual_mov_b32 v30, 0 :: v_dual_mov_b32 v3, 0
	s_and_saveexec_b32 s20, vcc_lo
	s_cbranch_execz .LBB4_986
; %bb.977:                              ;   in Loop: Header=BB4_681 Depth=2
	v_bfrev_b32_e32 v3, 1
	s_mov_b32 s21, exec_lo
	v_cmpx_ne_u16_e32 0xff80, v118
	s_cbranch_execz .LBB4_985
; %bb.978:                              ;   in Loop: Header=BB4_681 Depth=2
	v_and_b32_e32 v3, 0x7c, v4
	v_and_b32_e32 v119, 3, v4
	s_delay_alu instid0(VALU_DEP_2) | instskip(SKIP_1) | instid1(SALU_CYCLE_1)
	v_cmp_ne_u32_e32 vcc_lo, 0x7c, v3
                                        ; implicit-def: $vgpr3
	s_and_saveexec_b32 s22, vcc_lo
	s_xor_b32 s22, exec_lo, s22
	s_cbranch_execz .LBB4_982
; %bb.979:                              ;   in Loop: Header=BB4_681 Depth=2
	v_bfe_u32 v3, v4, 2, 5
	s_mov_b32 s23, exec_lo
	s_delay_alu instid0(VALU_DEP_1)
	v_cmpx_eq_u32_e32 0, v3
; %bb.980:                              ;   in Loop: Header=BB4_681 Depth=2
	v_clz_i32_u32_e32 v3, v119
	s_delay_alu instid0(VALU_DEP_1) | instskip(NEXT) | instid1(VALU_DEP_1)
	v_min_u32_e32 v3, 32, v3
	v_subrev_nc_u32_e32 v118, 29, v3
	s_delay_alu instid0(VALU_DEP_1) | instskip(NEXT) | instid1(VALU_DEP_1)
	v_lshlrev_b64_e32 v[118:119], v118, v[4:5]
	v_dual_sub_nc_u32 v3, 30, v3 :: v_dual_bitop2_b32 v119, 3, v118 bitop3:0x40
; %bb.981:                              ;   in Loop: Header=BB4_681 Depth=2
	s_or_b32 exec_lo, exec_lo, s23
	v_lshlrev_b32_e32 v5, 24, v4
                                        ; implicit-def: $vgpr118
	s_delay_alu instid0(VALU_DEP_1) | instskip(NEXT) | instid1(VALU_DEP_1)
	v_and_b32_e32 v5, 0x80000000, v5
	v_lshl_add_u32 v3, v3, 23, v5
	s_delay_alu instid0(VALU_DEP_1) | instskip(NEXT) | instid1(VALU_DEP_1)
	v_lshl_or_b32 v3, v119, 21, v3
                                        ; implicit-def: $vgpr119
	v_add_nc_u32_e32 v3, 0x38000000, v3
.LBB4_982:                              ;   in Loop: Header=BB4_681 Depth=2
	s_and_not1_saveexec_b32 s22, s22
; %bb.983:                              ;   in Loop: Header=BB4_681 Depth=2
	v_cmp_lt_i16_e32 vcc_lo, -1, v118
	v_cndmask_b32_e32 v3, 0xff800000, v21, vcc_lo
	v_cmp_eq_u32_e32 vcc_lo, 0, v119
	s_delay_alu instid0(VALU_DEP_2)
	v_cndmask_b32_e32 v3, 0x7f800001, v3, vcc_lo
; %bb.984:                              ;   in Loop: Header=BB4_681 Depth=2
	s_or_b32 exec_lo, exec_lo, s22
.LBB4_985:                              ;   in Loop: Header=BB4_681 Depth=2
	s_delay_alu instid0(SALU_CYCLE_1)
	s_or_b32 exec_lo, exec_lo, s21
.LBB4_986:                              ;   in Loop: Header=BB4_681 Depth=2
	s_delay_alu instid0(SALU_CYCLE_1) | instskip(NEXT) | instid1(SALU_CYCLE_1)
	s_or_b32 exec_lo, exec_lo, s20
	s_mov_b32 s20, exec_lo
	v_cmpx_ne_u16_e32 0, v2
	s_cbranch_execz .LBB4_996
; %bb.987:                              ;   in Loop: Header=BB4_681 Depth=2
	v_bfrev_b32_e32 v30, 1
	s_mov_b32 s21, exec_lo
	v_cmpx_ne_u16_e32 0xff80, v2
	s_cbranch_execz .LBB4_995
; %bb.988:                              ;   in Loop: Header=BB4_681 Depth=2
	v_and_b32_e32 v30, 0x7c, v54
	v_and_b32_e32 v5, 3, v54
	s_delay_alu instid0(VALU_DEP_2) | instskip(SKIP_1) | instid1(SALU_CYCLE_1)
	v_cmp_ne_u32_e32 vcc_lo, 0x7c, v30
                                        ; implicit-def: $vgpr30
	s_and_saveexec_b32 s22, vcc_lo
	s_xor_b32 s22, exec_lo, s22
	s_cbranch_execz .LBB4_992
; %bb.989:                              ;   in Loop: Header=BB4_681 Depth=2
	v_bfe_u32 v2, v54, 2, 5
	s_mov_b32 s23, exec_lo
	s_delay_alu instid0(VALU_DEP_1)
	v_cmpx_eq_u32_e32 0, v2
; %bb.990:                              ;   in Loop: Header=BB4_681 Depth=2
	v_clz_i32_u32_e32 v2, v5
	s_delay_alu instid0(VALU_DEP_1) | instskip(NEXT) | instid1(VALU_DEP_1)
	v_min_u32_e32 v2, 32, v2
	v_subrev_nc_u32_e32 v5, 29, v2
	v_sub_nc_u32_e32 v2, 30, v2
	s_delay_alu instid0(VALU_DEP_2) | instskip(NEXT) | instid1(VALU_DEP_1)
	v_lshlrev_b64_e32 v[118:119], v5, v[54:55]
	v_and_b32_e32 v5, 3, v118
; %bb.991:                              ;   in Loop: Header=BB4_681 Depth=2
	s_or_b32 exec_lo, exec_lo, s23
	v_lshlrev_b32_e32 v30, 24, v54
	s_delay_alu instid0(VALU_DEP_1) | instskip(NEXT) | instid1(VALU_DEP_1)
	v_and_b32_e32 v30, 0x80000000, v30
	v_lshl_add_u32 v2, v2, 23, v30
	s_delay_alu instid0(VALU_DEP_1) | instskip(NEXT) | instid1(VALU_DEP_1)
	v_lshl_or_b32 v2, v5, 21, v2
                                        ; implicit-def: $vgpr5
	v_add_nc_u32_e32 v30, 0x38000000, v2
                                        ; implicit-def: $vgpr2
.LBB4_992:                              ;   in Loop: Header=BB4_681 Depth=2
	s_and_not1_saveexec_b32 s22, s22
; %bb.993:                              ;   in Loop: Header=BB4_681 Depth=2
	v_cmp_lt_i16_e32 vcc_lo, -1, v2
	v_cndmask_b32_e32 v2, 0xff800000, v21, vcc_lo
	v_cmp_eq_u32_e32 vcc_lo, 0, v5
	s_delay_alu instid0(VALU_DEP_2)
	v_cndmask_b32_e32 v30, 0x7f800001, v2, vcc_lo
; %bb.994:                              ;   in Loop: Header=BB4_681 Depth=2
	s_or_b32 exec_lo, exec_lo, s22
.LBB4_995:                              ;   in Loop: Header=BB4_681 Depth=2
	s_delay_alu instid0(SALU_CYCLE_1)
	s_or_b32 exec_lo, exec_lo, s21
.LBB4_996:                              ;   in Loop: Header=BB4_681 Depth=2
	s_delay_alu instid0(SALU_CYCLE_1) | instskip(NEXT) | instid1(VALU_DEP_1)
	s_or_b32 exec_lo, exec_lo, s20
	v_dual_max_num_f32 v2, v30, v30 :: v_dual_max_num_f32 v3, v3, v3
	s_delay_alu instid0(VALU_DEP_1)
	v_min_num_f32_e32 v30, v3, v2
.LBB4_997:                              ;   in Loop: Header=BB4_681 Depth=2
	s_or_b32 exec_lo, exec_lo, s8
	s_delay_alu instid0(VALU_DEP_1) | instskip(SKIP_4) | instid1(VALU_DEP_3)
	v_and_b32_e32 v118, 0x7f800000, v30
	v_dual_mov_b32 v119, v55 :: v_dual_mov_b32 v3, v55
	v_and_b32_e32 v2, 0x7fffff, v30
	v_lshrrev_b32_e32 v5, 24, v30
                                        ; implicit-def: $vgpr45
	s_mov_b32 s8, exec_lo
	v_cmpx_ne_u64_e32 0x7f800000, v[118:119]
	s_xor_b32 s20, exec_lo, s8
	s_cbranch_execz .LBB4_1011
; %bb.998:                              ;   in Loop: Header=BB4_681 Depth=2
	v_and_b32_e32 v118, 0x7fffffff, v30
	v_mov_b32_e32 v119, v55
	v_and_b32_e32 v5, 0x80, v5
                                        ; implicit-def: $vgpr45
	s_mov_b32 s8, exec_lo
	s_delay_alu instid0(VALU_DEP_2)
	v_cmpx_gt_u64_e32 0x47600001, v[118:119]
	s_xor_b32 s21, exec_lo, s8
	s_cbranch_execz .LBB4_1008
; %bb.999:                              ;   in Loop: Header=BB4_681 Depth=2
	v_mov_b32_e32 v45, 0
	s_mov_b32 s22, exec_lo
	v_cmpx_ne_u32_e32 0, v30
	s_cbranch_execz .LBB4_1007
; %bb.1000:                             ;   in Loop: Header=BB4_681 Depth=2
	v_bfe_u32 v30, v30, 23, 8
	v_or_b32_e32 v41, 0x800000, v2
	s_delay_alu instid0(VALU_DEP_2) | instskip(SKIP_1) | instid1(VALU_DEP_2)
	v_sub_nc_u32_e32 v118, 0x71, v30
	v_cmp_gt_u32_e32 vcc_lo, 0x72, v30
	v_cndmask_b32_e32 v118, 0, v118, vcc_lo
	v_cmp_eq_u32_e32 vcc_lo, 0, v30
	s_delay_alu instid0(VALU_DEP_2) | instskip(NEXT) | instid1(VALU_DEP_1)
	v_cndmask_b32_e64 v40, v118, 0x70, vcc_lo
	v_dual_cndmask_b32 v2, v41, v2, vcc_lo :: v_dual_add_nc_u32 v118, 21, v40
	v_add_nc_u32_e32 v45, 20, v40
	s_delay_alu instid0(VALU_DEP_2) | instskip(NEXT) | instid1(VALU_DEP_2)
	v_lshlrev_b64_e64 v[118:119], v118, -1
	v_lshlrev_b64_e64 v[62:63], v45, 1
	s_delay_alu instid0(VALU_DEP_2) | instskip(SKIP_1) | instid1(VALU_DEP_4)
	v_bfi_b32 v118, v118, 0, v2
	v_lshrrev_b64 v[2:3], v40, v[2:3]
	v_bfi_b32 v119, v119, 0, 0
	s_delay_alu instid0(VALU_DEP_1) | instskip(NEXT) | instid1(VALU_DEP_3)
	v_cmp_eq_u64_e64 s8, v[118:119], v[62:63]
	v_mov_b64_e32 v[118:119], v[2:3]
	s_and_saveexec_b32 s23, s8
; %bb.1001:                             ;   in Loop: Header=BB4_681 Depth=2
	v_bfe_u32 v118, v2, 21, 1
	v_mov_b32_e32 v119, v55
	s_delay_alu instid0(VALU_DEP_1) | instskip(NEXT) | instid1(VALU_DEP_1)
	v_add_nc_u64_e32 v[118:119], v[2:3], v[118:119]
	v_add_nc_u64_e32 v[118:119], -1, v[118:119]
; %bb.1002:                             ;   in Loop: Header=BB4_681 Depth=2
	s_or_b32 exec_lo, exec_lo, s23
	v_add_nc_u32_e32 v3, 0xffffff81, v30
	v_lshrrev_b32_e32 v30, 23, v2
	s_mov_b32 s8, exec_lo
	s_delay_alu instid0(VALU_DEP_2) | instskip(NEXT) | instid1(VALU_DEP_1)
	v_cndmask_b32_e64 v3, v3, 0xffffff82, vcc_lo
	v_add3_u32 v119, v40, v3, v30
	v_and_b32_e32 v3, 0x1fffff, v118
                                        ; implicit-def: $vgpr30
	s_delay_alu instid0(VALU_DEP_1) | instskip(SKIP_1) | instid1(VALU_DEP_2)
	v_dual_add_nc_u32 v118, 14, v119 :: v_dual_add_nc_u32 v2, v3, v2
	v_mov_b32_e32 v3, v55
	v_cmpx_ne_u32_e32 0, v118
	s_xor_b32 s8, exec_lo, s8
; %bb.1003:                             ;   in Loop: Header=BB4_681 Depth=2
	s_delay_alu instid0(VALU_DEP_2) | instskip(SKIP_1) | instid1(VALU_DEP_1)
	v_cmp_lt_u64_e32 vcc_lo, 0xffffff, v[2:3]
	v_add_nc_u32_e32 v30, 15, v119
	v_cndmask_b32_e32 v30, v118, v30, vcc_lo
	v_cndmask_b32_e64 v118, 0, 1, vcc_lo
	s_delay_alu instid0(VALU_DEP_1)
	v_lshrrev_b64 v[2:3], v118, v[2:3]
; %bb.1004:                             ;   in Loop: Header=BB4_681 Depth=2
	s_and_not1_saveexec_b32 s8, s8
; %bb.1005:                             ;   in Loop: Header=BB4_681 Depth=2
	s_delay_alu instid0(VALU_DEP_1)
	v_bfe_u32 v30, v2, 23, 1
; %bb.1006:                             ;   in Loop: Header=BB4_681 Depth=2
	s_or_b32 exec_lo, exec_lo, s8
	s_delay_alu instid0(VALU_DEP_2) | instskip(NEXT) | instid1(VALU_DEP_2)
	v_lshrrev_b64 v[2:3], 21, v[2:3]
	v_cmp_gt_i32_e32 vcc_lo, 32, v30
	v_min_i32_e32 v118, 31, v30
	v_cmp_eq_u32_e64 s8, 0, v30
	s_delay_alu instid0(VALU_DEP_2) | instskip(SKIP_1) | instid1(VALU_DEP_2)
	v_dual_cndmask_b32 v3, 0, v3 :: v_dual_lshlrev_b32 v118, 2, v118
	v_cndmask_b32_e32 v2, 3, v2, vcc_lo
	v_and_b32_e32 v118, 0xfc, v118
	s_delay_alu instid0(VALU_DEP_2) | instskip(NEXT) | instid1(VALU_DEP_2)
	v_cmp_eq_u64_e32 vcc_lo, 0, v[2:3]
	v_and_or_b32 v2, v2, 3, v118
	s_and_b32 s8, s8, vcc_lo
	s_delay_alu instid0(VALU_DEP_1) | instid1(SALU_CYCLE_1)
	v_cndmask_b32_e64 v2, v2, 0, s8
	s_delay_alu instid0(VALU_DEP_1)
	v_or_b32_e32 v45, v2, v5
.LBB4_1007:                             ;   in Loop: Header=BB4_681 Depth=2
	s_or_b32 exec_lo, exec_lo, s22
                                        ; implicit-def: $vgpr5
.LBB4_1008:                             ;   in Loop: Header=BB4_681 Depth=2
	s_and_not1_saveexec_b32 s8, s21
; %bb.1009:                             ;   in Loop: Header=BB4_681 Depth=2
	v_or_b32_e32 v45, 0x7b, v5
; %bb.1010:                             ;   in Loop: Header=BB4_681 Depth=2
	s_or_b32 exec_lo, exec_lo, s8
                                        ; implicit-def: $vgpr30
                                        ; implicit-def: $vgpr2_vgpr3
                                        ; implicit-def: $vgpr5
.LBB4_1011:                             ;   in Loop: Header=BB4_681 Depth=2
	s_and_not1_saveexec_b32 s8, s20
	s_cbranch_execz .LBB4_1017
; %bb.1012:                             ;   in Loop: Header=BB4_681 Depth=2
	s_mov_b32 s20, exec_lo
                                        ; implicit-def: $vgpr45
	v_cmpx_ne_u64_e32 0, v[2:3]
	s_xor_b32 s20, exec_lo, s20
; %bb.1013:                             ;   in Loop: Header=BB4_681 Depth=2
	v_or_b32_e32 v45, 0x7f, v5
                                        ; implicit-def: $vgpr30
; %bb.1014:                             ;   in Loop: Header=BB4_681 Depth=2
	s_and_not1_saveexec_b32 s20, s20
; %bb.1015:                             ;   in Loop: Header=BB4_681 Depth=2
	v_cmp_lt_i32_e32 vcc_lo, -1, v30
	v_cndmask_b32_e32 v45, 0xfc, v58, vcc_lo
; %bb.1016:                             ;   in Loop: Header=BB4_681 Depth=2
	s_or_b32 exec_lo, exec_lo, s20
.LBB4_1017:                             ;   in Loop: Header=BB4_681 Depth=2
	s_delay_alu instid0(SALU_CYCLE_1) | instskip(SKIP_2) | instid1(VALU_DEP_2)
	s_or_b32 exec_lo, exec_lo, s8
	v_lshrrev_b16 v118, 8, v4
	v_lshrrev_b16 v2, 8, v54
                                        ; implicit-def: $vgpr30
	v_and_b32_e32 v119, 0xffff, v118
	v_cmp_ne_u16_e32 vcc_lo, 0, v118
	s_and_saveexec_b32 s8, s6
	s_delay_alu instid0(SALU_CYCLE_1)
	s_xor_b32 s20, exec_lo, s8
	s_cbranch_execz .LBB4_1039
; %bb.1018:                             ;   in Loop: Header=BB4_681 Depth=2
	v_dual_mov_b32 v3, 0 :: v_dual_mov_b32 v5, 0
	s_and_saveexec_b32 s21, vcc_lo
	s_cbranch_execz .LBB4_1028
; %bb.1019:                             ;   in Loop: Header=BB4_681 Depth=2
	v_bfrev_b32_e32 v5, 1
	s_mov_b32 s22, exec_lo
	v_cmpx_ne_u16_e32 0x80, v118
	s_cbranch_execz .LBB4_1027
; %bb.1020:                             ;   in Loop: Header=BB4_681 Depth=2
	v_and_b32_e32 v5, 0x7c, v119
	v_and_b32_e32 v30, 3, v119
	s_delay_alu instid0(VALU_DEP_2) | instskip(SKIP_1) | instid1(SALU_CYCLE_1)
	v_cmp_ne_u32_e64 s8, 0x7c, v5
                                        ; implicit-def: $vgpr5
	s_and_saveexec_b32 s23, s8
	s_xor_b32 s23, exec_lo, s23
	s_cbranch_execz .LBB4_1024
; %bb.1021:                             ;   in Loop: Header=BB4_681 Depth=2
	v_bfe_u32 v5, v119, 2, 5
	s_mov_b32 s24, exec_lo
	s_delay_alu instid0(VALU_DEP_1)
	v_cmpx_eq_u32_e32 0, v5
	s_cbranch_execz .LBB4_1023
; %bb.1022:                             ;   in Loop: Header=BB4_681 Depth=2
	v_clz_i32_u32_e32 v5, v30
	s_delay_alu instid0(VALU_DEP_1) | instskip(SKIP_1) | instid1(VALU_DEP_2)
	v_min_u32_e32 v5, 32, v5
	v_mov_b32_e32 v119, v55
	v_subrev_nc_u32_e32 v30, 29, v5
	v_sub_nc_u32_e32 v5, 30, v5
	s_delay_alu instid0(VALU_DEP_2) | instskip(NEXT) | instid1(VALU_DEP_1)
	v_lshlrev_b64_e32 v[118:119], v30, v[118:119]
	v_and_b32_e32 v30, 3, v118
.LBB4_1023:                             ;   in Loop: Header=BB4_681 Depth=2
	s_or_b32 exec_lo, exec_lo, s24
	v_lshlrev_b32_e32 v118, 16, v4
	s_delay_alu instid0(VALU_DEP_1) | instskip(NEXT) | instid1(VALU_DEP_1)
	v_and_b32_e32 v118, 0x80000000, v118
	v_lshl_add_u32 v5, v5, 23, v118
	s_delay_alu instid0(VALU_DEP_1) | instskip(NEXT) | instid1(VALU_DEP_1)
	v_lshl_or_b32 v5, v30, 21, v5
                                        ; implicit-def: $vgpr30
	v_add_nc_u32_e32 v5, 0x38000000, v5
.LBB4_1024:                             ;   in Loop: Header=BB4_681 Depth=2
	s_and_not1_saveexec_b32 s23, s23
; %bb.1025:                             ;   in Loop: Header=BB4_681 Depth=2
	v_cmp_lt_i16_e64 s8, -1, v4
	s_delay_alu instid0(VALU_DEP_1) | instskip(SKIP_1) | instid1(VALU_DEP_1)
	v_cndmask_b32_e64 v5, 0xff800000, v21, s8
	v_cmp_eq_u32_e64 s8, 0, v30
	v_cndmask_b32_e64 v5, 0x7f800001, v5, s8
; %bb.1026:                             ;   in Loop: Header=BB4_681 Depth=2
	s_or_b32 exec_lo, exec_lo, s23
.LBB4_1027:                             ;   in Loop: Header=BB4_681 Depth=2
	s_delay_alu instid0(SALU_CYCLE_1)
	s_or_b32 exec_lo, exec_lo, s22
.LBB4_1028:                             ;   in Loop: Header=BB4_681 Depth=2
	s_delay_alu instid0(SALU_CYCLE_1) | instskip(NEXT) | instid1(SALU_CYCLE_1)
	s_or_b32 exec_lo, exec_lo, s21
	s_mov_b32 s21, exec_lo
	v_cmpx_ne_u16_e32 0, v2
	s_cbranch_execz .LBB4_1038
; %bb.1029:                             ;   in Loop: Header=BB4_681 Depth=2
	v_bfrev_b32_e32 v3, 1
	s_mov_b32 s22, exec_lo
	v_cmpx_ne_u16_e32 0x80, v2
	s_cbranch_execz .LBB4_1037
; %bb.1030:                             ;   in Loop: Header=BB4_681 Depth=2
	v_and_b32_e32 v118, 0xffff, v2
	s_delay_alu instid0(VALU_DEP_1) | instskip(SKIP_1) | instid1(VALU_DEP_2)
	v_and_b32_e32 v3, 0x7c, v118
	v_and_b32_e32 v30, 3, v118
	v_cmp_ne_u32_e64 s8, 0x7c, v3
                                        ; implicit-def: $vgpr3
	s_and_saveexec_b32 s23, s8
	s_delay_alu instid0(SALU_CYCLE_1)
	s_xor_b32 s23, exec_lo, s23
	s_cbranch_execz .LBB4_1034
; %bb.1031:                             ;   in Loop: Header=BB4_681 Depth=2
	v_bfe_u32 v3, v118, 2, 5
	s_mov_b32 s24, exec_lo
	s_delay_alu instid0(VALU_DEP_1)
	v_cmpx_eq_u32_e32 0, v3
	s_cbranch_execz .LBB4_1033
; %bb.1032:                             ;   in Loop: Header=BB4_681 Depth=2
	v_clz_i32_u32_e32 v3, v30
	s_delay_alu instid0(VALU_DEP_1) | instskip(SKIP_1) | instid1(VALU_DEP_2)
	v_min_u32_e32 v30, 32, v3
	v_mov_b32_e32 v3, v55
	v_subrev_nc_u32_e32 v118, 29, v30
	s_delay_alu instid0(VALU_DEP_1) | instskip(SKIP_1) | instid1(VALU_DEP_2)
	v_lshlrev_b64_e32 v[2:3], v118, v[2:3]
	v_sub_nc_u32_e32 v3, 30, v30
	v_and_b32_e32 v30, 3, v2
.LBB4_1033:                             ;   in Loop: Header=BB4_681 Depth=2
	s_or_b32 exec_lo, exec_lo, s24
	v_lshlrev_b32_e32 v2, 16, v54
	s_delay_alu instid0(VALU_DEP_1) | instskip(NEXT) | instid1(VALU_DEP_1)
	v_and_b32_e32 v2, 0x80000000, v2
	v_lshl_add_u32 v2, v3, 23, v2
	s_delay_alu instid0(VALU_DEP_1) | instskip(NEXT) | instid1(VALU_DEP_1)
	v_lshl_or_b32 v2, v30, 21, v2
                                        ; implicit-def: $vgpr30
	v_add_nc_u32_e32 v3, 0x38000000, v2
.LBB4_1034:                             ;   in Loop: Header=BB4_681 Depth=2
	s_and_not1_saveexec_b32 s23, s23
; %bb.1035:                             ;   in Loop: Header=BB4_681 Depth=2
	v_cmp_lt_i16_e64 s8, -1, v54
	s_delay_alu instid0(VALU_DEP_1) | instskip(SKIP_1) | instid1(VALU_DEP_1)
	v_cndmask_b32_e64 v2, 0xff800000, v21, s8
	v_cmp_eq_u32_e64 s8, 0, v30
	v_cndmask_b32_e64 v3, 0x7f800001, v2, s8
; %bb.1036:                             ;   in Loop: Header=BB4_681 Depth=2
	s_or_b32 exec_lo, exec_lo, s23
.LBB4_1037:                             ;   in Loop: Header=BB4_681 Depth=2
	s_delay_alu instid0(SALU_CYCLE_1)
	s_or_b32 exec_lo, exec_lo, s22
.LBB4_1038:                             ;   in Loop: Header=BB4_681 Depth=2
	s_delay_alu instid0(SALU_CYCLE_1) | instskip(NEXT) | instid1(VALU_DEP_1)
	s_or_b32 exec_lo, exec_lo, s21
	v_dual_max_num_f32 v2, v3, v3 :: v_dual_max_num_f32 v3, v5, v5
                                        ; implicit-def: $vgpr118
                                        ; implicit-def: $vgpr119
	s_delay_alu instid0(VALU_DEP_1)
	v_max_num_f32_e32 v30, v3, v2
                                        ; implicit-def: $vgpr2
.LBB4_1039:                             ;   in Loop: Header=BB4_681 Depth=2
	s_and_not1_saveexec_b32 s8, s20
	s_cbranch_execz .LBB4_1061
; %bb.1040:                             ;   in Loop: Header=BB4_681 Depth=2
	v_dual_mov_b32 v3, 0 :: v_dual_mov_b32 v5, 0
	s_and_saveexec_b32 s20, vcc_lo
	s_cbranch_execz .LBB4_1050
; %bb.1041:                             ;   in Loop: Header=BB4_681 Depth=2
	v_bfrev_b32_e32 v5, 1
	s_mov_b32 s21, exec_lo
	v_cmpx_ne_u16_e32 0x80, v118
	s_cbranch_execz .LBB4_1049
; %bb.1042:                             ;   in Loop: Header=BB4_681 Depth=2
	v_and_b32_e32 v5, 0x7c, v119
	v_and_b32_e32 v30, 3, v119
	s_delay_alu instid0(VALU_DEP_2) | instskip(SKIP_1) | instid1(SALU_CYCLE_1)
	v_cmp_ne_u32_e32 vcc_lo, 0x7c, v5
                                        ; implicit-def: $vgpr5
	s_and_saveexec_b32 s22, vcc_lo
	s_xor_b32 s22, exec_lo, s22
	s_cbranch_execz .LBB4_1046
; %bb.1043:                             ;   in Loop: Header=BB4_681 Depth=2
	v_bfe_u32 v5, v119, 2, 5
	s_mov_b32 s23, exec_lo
	s_delay_alu instid0(VALU_DEP_1)
	v_cmpx_eq_u32_e32 0, v5
	s_cbranch_execz .LBB4_1045
; %bb.1044:                             ;   in Loop: Header=BB4_681 Depth=2
	v_clz_i32_u32_e32 v5, v30
	s_delay_alu instid0(VALU_DEP_1) | instskip(SKIP_1) | instid1(VALU_DEP_2)
	v_min_u32_e32 v5, 32, v5
	v_mov_b32_e32 v119, v55
	v_subrev_nc_u32_e32 v30, 29, v5
	v_sub_nc_u32_e32 v5, 30, v5
	s_delay_alu instid0(VALU_DEP_2) | instskip(NEXT) | instid1(VALU_DEP_1)
	v_lshlrev_b64_e32 v[118:119], v30, v[118:119]
	v_and_b32_e32 v30, 3, v118
.LBB4_1045:                             ;   in Loop: Header=BB4_681 Depth=2
	s_or_b32 exec_lo, exec_lo, s23
	v_lshlrev_b32_e32 v118, 16, v4
	s_delay_alu instid0(VALU_DEP_1) | instskip(NEXT) | instid1(VALU_DEP_1)
	v_and_b32_e32 v118, 0x80000000, v118
	v_lshl_add_u32 v5, v5, 23, v118
	s_delay_alu instid0(VALU_DEP_1) | instskip(NEXT) | instid1(VALU_DEP_1)
	v_lshl_or_b32 v5, v30, 21, v5
                                        ; implicit-def: $vgpr30
	v_add_nc_u32_e32 v5, 0x38000000, v5
.LBB4_1046:                             ;   in Loop: Header=BB4_681 Depth=2
	s_and_not1_saveexec_b32 s22, s22
; %bb.1047:                             ;   in Loop: Header=BB4_681 Depth=2
	v_cmp_lt_i16_e32 vcc_lo, -1, v4
	v_cndmask_b32_e32 v5, 0xff800000, v21, vcc_lo
	v_cmp_eq_u32_e32 vcc_lo, 0, v30
	s_delay_alu instid0(VALU_DEP_2)
	v_cndmask_b32_e32 v5, 0x7f800001, v5, vcc_lo
; %bb.1048:                             ;   in Loop: Header=BB4_681 Depth=2
	s_or_b32 exec_lo, exec_lo, s22
.LBB4_1049:                             ;   in Loop: Header=BB4_681 Depth=2
	s_delay_alu instid0(SALU_CYCLE_1)
	s_or_b32 exec_lo, exec_lo, s21
.LBB4_1050:                             ;   in Loop: Header=BB4_681 Depth=2
	s_delay_alu instid0(SALU_CYCLE_1) | instskip(NEXT) | instid1(SALU_CYCLE_1)
	s_or_b32 exec_lo, exec_lo, s20
	s_mov_b32 s20, exec_lo
	v_cmpx_ne_u16_e32 0, v2
	s_cbranch_execz .LBB4_1060
; %bb.1051:                             ;   in Loop: Header=BB4_681 Depth=2
	v_bfrev_b32_e32 v3, 1
	s_mov_b32 s21, exec_lo
	v_cmpx_ne_u16_e32 0x80, v2
	s_cbranch_execz .LBB4_1059
; %bb.1052:                             ;   in Loop: Header=BB4_681 Depth=2
	v_and_b32_e32 v118, 0xffff, v2
	s_delay_alu instid0(VALU_DEP_1) | instskip(SKIP_1) | instid1(VALU_DEP_2)
	v_and_b32_e32 v3, 0x7c, v118
	v_and_b32_e32 v30, 3, v118
	v_cmp_ne_u32_e32 vcc_lo, 0x7c, v3
                                        ; implicit-def: $vgpr3
	s_and_saveexec_b32 s22, vcc_lo
	s_delay_alu instid0(SALU_CYCLE_1)
	s_xor_b32 s22, exec_lo, s22
	s_cbranch_execz .LBB4_1056
; %bb.1053:                             ;   in Loop: Header=BB4_681 Depth=2
	v_bfe_u32 v3, v118, 2, 5
	s_mov_b32 s23, exec_lo
	s_delay_alu instid0(VALU_DEP_1)
	v_cmpx_eq_u32_e32 0, v3
	s_cbranch_execz .LBB4_1055
; %bb.1054:                             ;   in Loop: Header=BB4_681 Depth=2
	v_clz_i32_u32_e32 v3, v30
	s_delay_alu instid0(VALU_DEP_1) | instskip(SKIP_1) | instid1(VALU_DEP_2)
	v_min_u32_e32 v30, 32, v3
	v_mov_b32_e32 v3, v55
	v_subrev_nc_u32_e32 v118, 29, v30
	s_delay_alu instid0(VALU_DEP_1) | instskip(SKIP_1) | instid1(VALU_DEP_2)
	v_lshlrev_b64_e32 v[2:3], v118, v[2:3]
	v_sub_nc_u32_e32 v3, 30, v30
	v_and_b32_e32 v30, 3, v2
.LBB4_1055:                             ;   in Loop: Header=BB4_681 Depth=2
	s_or_b32 exec_lo, exec_lo, s23
	v_lshlrev_b32_e32 v2, 16, v54
	s_delay_alu instid0(VALU_DEP_1) | instskip(NEXT) | instid1(VALU_DEP_1)
	v_and_b32_e32 v2, 0x80000000, v2
	v_lshl_add_u32 v2, v3, 23, v2
	s_delay_alu instid0(VALU_DEP_1) | instskip(NEXT) | instid1(VALU_DEP_1)
	v_lshl_or_b32 v2, v30, 21, v2
                                        ; implicit-def: $vgpr30
	v_add_nc_u32_e32 v3, 0x38000000, v2
.LBB4_1056:                             ;   in Loop: Header=BB4_681 Depth=2
	s_and_not1_saveexec_b32 s22, s22
; %bb.1057:                             ;   in Loop: Header=BB4_681 Depth=2
	v_cmp_lt_i16_e32 vcc_lo, -1, v54
	v_cndmask_b32_e32 v2, 0xff800000, v21, vcc_lo
	v_cmp_eq_u32_e32 vcc_lo, 0, v30
	s_delay_alu instid0(VALU_DEP_2)
	v_cndmask_b32_e32 v3, 0x7f800001, v2, vcc_lo
; %bb.1058:                             ;   in Loop: Header=BB4_681 Depth=2
	s_or_b32 exec_lo, exec_lo, s22
.LBB4_1059:                             ;   in Loop: Header=BB4_681 Depth=2
	s_delay_alu instid0(SALU_CYCLE_1)
	s_or_b32 exec_lo, exec_lo, s21
.LBB4_1060:                             ;   in Loop: Header=BB4_681 Depth=2
	s_delay_alu instid0(SALU_CYCLE_1) | instskip(NEXT) | instid1(VALU_DEP_1)
	s_or_b32 exec_lo, exec_lo, s20
	v_dual_max_num_f32 v2, v3, v3 :: v_dual_max_num_f32 v3, v5, v5
	s_delay_alu instid0(VALU_DEP_1)
	v_min_num_f32_e32 v30, v3, v2
.LBB4_1061:                             ;   in Loop: Header=BB4_681 Depth=2
	s_or_b32 exec_lo, exec_lo, s8
	s_delay_alu instid0(VALU_DEP_1) | instskip(SKIP_4) | instid1(VALU_DEP_3)
	v_and_b32_e32 v118, 0x7f800000, v30
	v_dual_mov_b32 v119, v55 :: v_dual_mov_b32 v3, v55
	v_and_b32_e32 v2, 0x7fffff, v30
	v_lshrrev_b32_e32 v5, 24, v30
                                        ; implicit-def: $vgpr46
	s_mov_b32 s8, exec_lo
	v_cmpx_ne_u64_e32 0x7f800000, v[118:119]
	s_xor_b32 s20, exec_lo, s8
	s_cbranch_execz .LBB4_1075
; %bb.1062:                             ;   in Loop: Header=BB4_681 Depth=2
	v_and_b32_e32 v118, 0x7fffffff, v30
	v_mov_b32_e32 v119, v55
	v_and_b32_e32 v5, 0x80, v5
                                        ; implicit-def: $vgpr46
	s_mov_b32 s8, exec_lo
	s_delay_alu instid0(VALU_DEP_2)
	v_cmpx_gt_u64_e32 0x47600001, v[118:119]
	s_xor_b32 s21, exec_lo, s8
	s_cbranch_execz .LBB4_1072
; %bb.1063:                             ;   in Loop: Header=BB4_681 Depth=2
	v_mov_b32_e32 v46, 0
	s_mov_b32 s22, exec_lo
	v_cmpx_ne_u32_e32 0, v30
	s_cbranch_execz .LBB4_1071
; %bb.1064:                             ;   in Loop: Header=BB4_681 Depth=2
	v_bfe_u32 v30, v30, 23, 8
	v_or_b32_e32 v41, 0x800000, v2
	s_delay_alu instid0(VALU_DEP_2) | instskip(SKIP_1) | instid1(VALU_DEP_2)
	v_sub_nc_u32_e32 v118, 0x71, v30
	v_cmp_gt_u32_e32 vcc_lo, 0x72, v30
	v_cndmask_b32_e32 v118, 0, v118, vcc_lo
	v_cmp_eq_u32_e32 vcc_lo, 0, v30
	s_delay_alu instid0(VALU_DEP_2) | instskip(NEXT) | instid1(VALU_DEP_1)
	v_cndmask_b32_e64 v40, v118, 0x70, vcc_lo
	v_dual_cndmask_b32 v2, v41, v2, vcc_lo :: v_dual_add_nc_u32 v118, 21, v40
	v_add_nc_u32_e32 v46, 20, v40
	s_delay_alu instid0(VALU_DEP_2) | instskip(NEXT) | instid1(VALU_DEP_2)
	v_lshlrev_b64_e64 v[118:119], v118, -1
	v_lshlrev_b64_e64 v[62:63], v46, 1
	s_delay_alu instid0(VALU_DEP_2) | instskip(SKIP_1) | instid1(VALU_DEP_4)
	v_bfi_b32 v118, v118, 0, v2
	v_lshrrev_b64 v[2:3], v40, v[2:3]
	v_bfi_b32 v119, v119, 0, 0
	s_delay_alu instid0(VALU_DEP_1) | instskip(NEXT) | instid1(VALU_DEP_3)
	v_cmp_eq_u64_e64 s8, v[118:119], v[62:63]
	v_mov_b64_e32 v[118:119], v[2:3]
	s_and_saveexec_b32 s23, s8
; %bb.1065:                             ;   in Loop: Header=BB4_681 Depth=2
	v_bfe_u32 v118, v2, 21, 1
	v_mov_b32_e32 v119, v55
	s_delay_alu instid0(VALU_DEP_1) | instskip(NEXT) | instid1(VALU_DEP_1)
	v_add_nc_u64_e32 v[118:119], v[2:3], v[118:119]
	v_add_nc_u64_e32 v[118:119], -1, v[118:119]
; %bb.1066:                             ;   in Loop: Header=BB4_681 Depth=2
	s_or_b32 exec_lo, exec_lo, s23
	v_add_nc_u32_e32 v3, 0xffffff81, v30
	v_lshrrev_b32_e32 v30, 23, v2
	s_mov_b32 s8, exec_lo
	s_delay_alu instid0(VALU_DEP_2) | instskip(NEXT) | instid1(VALU_DEP_1)
	v_cndmask_b32_e64 v3, v3, 0xffffff82, vcc_lo
	v_add3_u32 v119, v40, v3, v30
	v_and_b32_e32 v3, 0x1fffff, v118
                                        ; implicit-def: $vgpr30
	s_delay_alu instid0(VALU_DEP_1) | instskip(SKIP_1) | instid1(VALU_DEP_2)
	v_dual_add_nc_u32 v118, 14, v119 :: v_dual_add_nc_u32 v2, v3, v2
	v_mov_b32_e32 v3, v55
	v_cmpx_ne_u32_e32 0, v118
	s_xor_b32 s8, exec_lo, s8
; %bb.1067:                             ;   in Loop: Header=BB4_681 Depth=2
	s_delay_alu instid0(VALU_DEP_2) | instskip(SKIP_1) | instid1(VALU_DEP_1)
	v_cmp_lt_u64_e32 vcc_lo, 0xffffff, v[2:3]
	v_add_nc_u32_e32 v30, 15, v119
	v_cndmask_b32_e32 v30, v118, v30, vcc_lo
	v_cndmask_b32_e64 v118, 0, 1, vcc_lo
	s_delay_alu instid0(VALU_DEP_1)
	v_lshrrev_b64 v[2:3], v118, v[2:3]
; %bb.1068:                             ;   in Loop: Header=BB4_681 Depth=2
	s_and_not1_saveexec_b32 s8, s8
; %bb.1069:                             ;   in Loop: Header=BB4_681 Depth=2
	s_delay_alu instid0(VALU_DEP_1)
	v_bfe_u32 v30, v2, 23, 1
; %bb.1070:                             ;   in Loop: Header=BB4_681 Depth=2
	s_or_b32 exec_lo, exec_lo, s8
	s_delay_alu instid0(VALU_DEP_2) | instskip(NEXT) | instid1(VALU_DEP_2)
	v_lshrrev_b64 v[2:3], 21, v[2:3]
	v_cmp_gt_i32_e32 vcc_lo, 32, v30
	v_min_i32_e32 v118, 31, v30
	v_cmp_eq_u32_e64 s8, 0, v30
	s_delay_alu instid0(VALU_DEP_2) | instskip(SKIP_1) | instid1(VALU_DEP_2)
	v_dual_cndmask_b32 v3, 0, v3 :: v_dual_lshlrev_b32 v118, 2, v118
	v_cndmask_b32_e32 v2, 3, v2, vcc_lo
	v_and_b32_e32 v118, 0xfc, v118
	s_delay_alu instid0(VALU_DEP_2) | instskip(NEXT) | instid1(VALU_DEP_2)
	v_cmp_eq_u64_e32 vcc_lo, 0, v[2:3]
	v_and_or_b32 v2, v2, 3, v118
	s_and_b32 s8, s8, vcc_lo
	s_delay_alu instid0(VALU_DEP_1) | instid1(SALU_CYCLE_1)
	v_cndmask_b32_e64 v2, v2, 0, s8
	s_delay_alu instid0(VALU_DEP_1)
	v_or_b32_e32 v46, v2, v5
.LBB4_1071:                             ;   in Loop: Header=BB4_681 Depth=2
	s_or_b32 exec_lo, exec_lo, s22
                                        ; implicit-def: $vgpr5
.LBB4_1072:                             ;   in Loop: Header=BB4_681 Depth=2
	s_and_not1_saveexec_b32 s8, s21
; %bb.1073:                             ;   in Loop: Header=BB4_681 Depth=2
	v_or_b32_e32 v46, 0x7b, v5
; %bb.1074:                             ;   in Loop: Header=BB4_681 Depth=2
	s_or_b32 exec_lo, exec_lo, s8
                                        ; implicit-def: $vgpr30
                                        ; implicit-def: $vgpr2_vgpr3
                                        ; implicit-def: $vgpr5
.LBB4_1075:                             ;   in Loop: Header=BB4_681 Depth=2
	s_and_not1_saveexec_b32 s8, s20
	s_cbranch_execz .LBB4_1081
; %bb.1076:                             ;   in Loop: Header=BB4_681 Depth=2
	s_mov_b32 s20, exec_lo
                                        ; implicit-def: $vgpr46
	v_cmpx_ne_u64_e32 0, v[2:3]
	s_xor_b32 s20, exec_lo, s20
; %bb.1077:                             ;   in Loop: Header=BB4_681 Depth=2
	v_or_b32_e32 v46, 0x7f, v5
                                        ; implicit-def: $vgpr30
; %bb.1078:                             ;   in Loop: Header=BB4_681 Depth=2
	s_and_not1_saveexec_b32 s20, s20
; %bb.1079:                             ;   in Loop: Header=BB4_681 Depth=2
	v_cmp_lt_i32_e32 vcc_lo, -1, v30
	v_cndmask_b32_e32 v46, 0xfc, v58, vcc_lo
; %bb.1080:                             ;   in Loop: Header=BB4_681 Depth=2
	s_or_b32 exec_lo, exec_lo, s20
.LBB4_1081:                             ;   in Loop: Header=BB4_681 Depth=2
	s_delay_alu instid0(SALU_CYCLE_1) | instskip(SKIP_1) | instid1(VALU_DEP_1)
	s_or_b32 exec_lo, exec_lo, s8
	v_dual_lshrrev_b32 v30, 16, v4 :: v_dual_lshrrev_b32 v2, 16, v54
                                        ; implicit-def: $vgpr118
	v_and_b32_e32 v119, 0xff, v30
	s_delay_alu instid0(VALU_DEP_1) | instskip(SKIP_1) | instid1(SALU_CYCLE_1)
	v_cmp_ne_u16_e32 vcc_lo, 0, v119
	s_and_saveexec_b32 s8, s6
	s_xor_b32 s20, exec_lo, s8
	s_cbranch_execz .LBB4_1103
; %bb.1082:                             ;   in Loop: Header=BB4_681 Depth=2
	v_dual_mov_b32 v5, 0 :: v_dual_mov_b32 v3, 0
	s_and_saveexec_b32 s21, vcc_lo
	s_cbranch_execz .LBB4_1092
; %bb.1083:                             ;   in Loop: Header=BB4_681 Depth=2
	v_bfrev_b32_e32 v3, 1
	s_mov_b32 s22, exec_lo
	v_cmpx_ne_u16_e32 0x80, v119
	s_cbranch_execz .LBB4_1091
; %bb.1084:                             ;   in Loop: Header=BB4_681 Depth=2
	v_and_b32_e32 v3, 0x7c0000, v4
	v_bfe_u32 v118, v4, 16, 2
	s_delay_alu instid0(VALU_DEP_2) | instskip(SKIP_1) | instid1(SALU_CYCLE_1)
	v_cmp_ne_u32_e64 s8, 0x7c0000, v3
                                        ; implicit-def: $vgpr3
	s_and_saveexec_b32 s23, s8
	s_xor_b32 s23, exec_lo, s23
	s_cbranch_execz .LBB4_1088
; %bb.1085:                             ;   in Loop: Header=BB4_681 Depth=2
	v_bfe_u32 v3, v4, 18, 5
	s_mov_b32 s24, exec_lo
	s_delay_alu instid0(VALU_DEP_1)
	v_cmpx_eq_u32_e32 0, v3
; %bb.1086:                             ;   in Loop: Header=BB4_681 Depth=2
	v_clz_i32_u32_e32 v3, v118
	s_delay_alu instid0(VALU_DEP_1) | instskip(NEXT) | instid1(VALU_DEP_1)
	v_min_u32_e32 v3, 32, v3
	v_subrev_nc_u32_e32 v118, 29, v3
	s_delay_alu instid0(VALU_DEP_1) | instskip(NEXT) | instid1(VALU_DEP_1)
	v_lshlrev_b64_e32 v[118:119], v118, v[30:31]
	v_dual_sub_nc_u32 v3, 30, v3 :: v_dual_bitop2_b32 v118, 3, v118 bitop3:0x40
; %bb.1087:                             ;   in Loop: Header=BB4_681 Depth=2
	s_or_b32 exec_lo, exec_lo, s24
	v_lshlrev_b32_e32 v30, 24, v30
	s_delay_alu instid0(VALU_DEP_1) | instskip(NEXT) | instid1(VALU_DEP_1)
	v_and_b32_e32 v30, 0x80000000, v30
	v_lshl_add_u32 v3, v3, 23, v30
                                        ; implicit-def: $vgpr30
	s_delay_alu instid0(VALU_DEP_1) | instskip(NEXT) | instid1(VALU_DEP_1)
	v_lshl_or_b32 v3, v118, 21, v3
                                        ; implicit-def: $vgpr118
	v_add_nc_u32_e32 v3, 0x38000000, v3
.LBB4_1088:                             ;   in Loop: Header=BB4_681 Depth=2
	s_and_not1_saveexec_b32 s23, s23
; %bb.1089:                             ;   in Loop: Header=BB4_681 Depth=2
	v_bfe_i32 v3, v30, 0, 8
	s_delay_alu instid0(VALU_DEP_1) | instskip(NEXT) | instid1(VALU_DEP_1)
	v_cmp_lt_i16_e64 s8, -1, v3
	v_cndmask_b32_e64 v3, 0xff800000, v21, s8
	v_cmp_eq_u32_e64 s8, 0, v118
	s_delay_alu instid0(VALU_DEP_1)
	v_cndmask_b32_e64 v3, 0x7f800001, v3, s8
; %bb.1090:                             ;   in Loop: Header=BB4_681 Depth=2
	s_or_b32 exec_lo, exec_lo, s23
.LBB4_1091:                             ;   in Loop: Header=BB4_681 Depth=2
	s_delay_alu instid0(SALU_CYCLE_1)
	s_or_b32 exec_lo, exec_lo, s22
.LBB4_1092:                             ;   in Loop: Header=BB4_681 Depth=2
	s_delay_alu instid0(SALU_CYCLE_1) | instskip(SKIP_2) | instid1(VALU_DEP_1)
	s_or_b32 exec_lo, exec_lo, s21
	v_and_b32_e32 v30, 0xff, v2
	s_mov_b32 s21, exec_lo
	v_cmpx_ne_u16_e32 0, v30
	s_cbranch_execz .LBB4_1102
; %bb.1093:                             ;   in Loop: Header=BB4_681 Depth=2
	v_bfrev_b32_e32 v5, 1
	s_mov_b32 s22, exec_lo
	v_cmpx_ne_u16_e32 0x80, v30
	s_cbranch_execz .LBB4_1101
; %bb.1094:                             ;   in Loop: Header=BB4_681 Depth=2
	v_and_b32_e32 v5, 0x7c0000, v54
	v_bfe_u32 v30, v54, 16, 2
	s_delay_alu instid0(VALU_DEP_2) | instskip(SKIP_1) | instid1(SALU_CYCLE_1)
	v_cmp_ne_u32_e64 s8, 0x7c0000, v5
                                        ; implicit-def: $vgpr5
	s_and_saveexec_b32 s23, s8
	s_xor_b32 s23, exec_lo, s23
	s_cbranch_execz .LBB4_1098
; %bb.1095:                             ;   in Loop: Header=BB4_681 Depth=2
	v_bfe_u32 v5, v54, 18, 5
	s_mov_b32 s24, exec_lo
	s_delay_alu instid0(VALU_DEP_1)
	v_cmpx_eq_u32_e32 0, v5
; %bb.1096:                             ;   in Loop: Header=BB4_681 Depth=2
	v_clz_i32_u32_e32 v5, v30
	s_delay_alu instid0(VALU_DEP_1) | instskip(NEXT) | instid1(VALU_DEP_1)
	v_min_u32_e32 v5, 32, v5
	v_subrev_nc_u32_e32 v30, 29, v5
	s_delay_alu instid0(VALU_DEP_1) | instskip(NEXT) | instid1(VALU_DEP_1)
	v_lshlrev_b64_e32 v[118:119], v30, v[2:3]
	v_dual_sub_nc_u32 v5, 30, v5 :: v_dual_bitop2_b32 v30, 3, v118 bitop3:0x40
; %bb.1097:                             ;   in Loop: Header=BB4_681 Depth=2
	s_or_b32 exec_lo, exec_lo, s24
	v_lshlrev_b32_e32 v2, 24, v2
	s_delay_alu instid0(VALU_DEP_1) | instskip(NEXT) | instid1(VALU_DEP_1)
	v_and_b32_e32 v2, 0x80000000, v2
	v_lshl_add_u32 v2, v5, 23, v2
	s_delay_alu instid0(VALU_DEP_1) | instskip(NEXT) | instid1(VALU_DEP_1)
	v_lshl_or_b32 v2, v30, 21, v2
                                        ; implicit-def: $vgpr30
	v_add_nc_u32_e32 v5, 0x38000000, v2
                                        ; implicit-def: $vgpr2
.LBB4_1098:                             ;   in Loop: Header=BB4_681 Depth=2
	s_and_not1_saveexec_b32 s23, s23
; %bb.1099:                             ;   in Loop: Header=BB4_681 Depth=2
	v_bfe_i32 v2, v2, 0, 8
	s_delay_alu instid0(VALU_DEP_1) | instskip(NEXT) | instid1(VALU_DEP_1)
	v_cmp_lt_i16_e64 s8, -1, v2
	v_cndmask_b32_e64 v2, 0xff800000, v21, s8
	v_cmp_eq_u32_e64 s8, 0, v30
	s_delay_alu instid0(VALU_DEP_1)
	v_cndmask_b32_e64 v5, 0x7f800001, v2, s8
; %bb.1100:                             ;   in Loop: Header=BB4_681 Depth=2
	s_or_b32 exec_lo, exec_lo, s23
.LBB4_1101:                             ;   in Loop: Header=BB4_681 Depth=2
	s_delay_alu instid0(SALU_CYCLE_1)
	s_or_b32 exec_lo, exec_lo, s22
.LBB4_1102:                             ;   in Loop: Header=BB4_681 Depth=2
	s_delay_alu instid0(SALU_CYCLE_1) | instskip(NEXT) | instid1(VALU_DEP_1)
	s_or_b32 exec_lo, exec_lo, s21
	v_dual_max_num_f32 v2, v5, v5 :: v_dual_max_num_f32 v3, v3, v3
                                        ; implicit-def: $vgpr119
                                        ; implicit-def: $vgpr30
	s_delay_alu instid0(VALU_DEP_1)
	v_max_num_f32_e32 v118, v3, v2
                                        ; implicit-def: $vgpr2
.LBB4_1103:                             ;   in Loop: Header=BB4_681 Depth=2
	s_and_not1_saveexec_b32 s8, s20
	s_cbranch_execz .LBB4_1125
; %bb.1104:                             ;   in Loop: Header=BB4_681 Depth=2
	v_dual_mov_b32 v5, 0 :: v_dual_mov_b32 v3, 0
	s_and_saveexec_b32 s20, vcc_lo
	s_cbranch_execz .LBB4_1114
; %bb.1105:                             ;   in Loop: Header=BB4_681 Depth=2
	v_bfrev_b32_e32 v3, 1
	s_mov_b32 s21, exec_lo
	v_cmpx_ne_u16_e32 0x80, v119
	s_cbranch_execz .LBB4_1113
; %bb.1106:                             ;   in Loop: Header=BB4_681 Depth=2
	v_and_b32_e32 v3, 0x7c0000, v4
	v_bfe_u32 v118, v4, 16, 2
	s_delay_alu instid0(VALU_DEP_2) | instskip(SKIP_1) | instid1(SALU_CYCLE_1)
	v_cmp_ne_u32_e32 vcc_lo, 0x7c0000, v3
                                        ; implicit-def: $vgpr3
	s_and_saveexec_b32 s22, vcc_lo
	s_xor_b32 s22, exec_lo, s22
	s_cbranch_execz .LBB4_1110
; %bb.1107:                             ;   in Loop: Header=BB4_681 Depth=2
	v_bfe_u32 v3, v4, 18, 5
	s_mov_b32 s23, exec_lo
	s_delay_alu instid0(VALU_DEP_1)
	v_cmpx_eq_u32_e32 0, v3
; %bb.1108:                             ;   in Loop: Header=BB4_681 Depth=2
	v_clz_i32_u32_e32 v3, v118
	s_delay_alu instid0(VALU_DEP_1) | instskip(NEXT) | instid1(VALU_DEP_1)
	v_min_u32_e32 v3, 32, v3
	v_subrev_nc_u32_e32 v118, 29, v3
	s_delay_alu instid0(VALU_DEP_1) | instskip(NEXT) | instid1(VALU_DEP_1)
	v_lshlrev_b64_e32 v[118:119], v118, v[30:31]
	v_dual_sub_nc_u32 v3, 30, v3 :: v_dual_bitop2_b32 v118, 3, v118 bitop3:0x40
; %bb.1109:                             ;   in Loop: Header=BB4_681 Depth=2
	s_or_b32 exec_lo, exec_lo, s23
	v_lshlrev_b32_e32 v30, 24, v30
	s_delay_alu instid0(VALU_DEP_1) | instskip(NEXT) | instid1(VALU_DEP_1)
	v_and_b32_e32 v30, 0x80000000, v30
	v_lshl_add_u32 v3, v3, 23, v30
                                        ; implicit-def: $vgpr30
	s_delay_alu instid0(VALU_DEP_1) | instskip(NEXT) | instid1(VALU_DEP_1)
	v_lshl_or_b32 v3, v118, 21, v3
                                        ; implicit-def: $vgpr118
	v_add_nc_u32_e32 v3, 0x38000000, v3
.LBB4_1110:                             ;   in Loop: Header=BB4_681 Depth=2
	s_and_not1_saveexec_b32 s22, s22
; %bb.1111:                             ;   in Loop: Header=BB4_681 Depth=2
	v_bfe_i32 v3, v30, 0, 8
	s_delay_alu instid0(VALU_DEP_1) | instskip(SKIP_2) | instid1(VALU_DEP_2)
	v_cmp_lt_i16_e32 vcc_lo, -1, v3
	v_cndmask_b32_e32 v3, 0xff800000, v21, vcc_lo
	v_cmp_eq_u32_e32 vcc_lo, 0, v118
	v_cndmask_b32_e32 v3, 0x7f800001, v3, vcc_lo
; %bb.1112:                             ;   in Loop: Header=BB4_681 Depth=2
	s_or_b32 exec_lo, exec_lo, s22
.LBB4_1113:                             ;   in Loop: Header=BB4_681 Depth=2
	s_delay_alu instid0(SALU_CYCLE_1)
	s_or_b32 exec_lo, exec_lo, s21
.LBB4_1114:                             ;   in Loop: Header=BB4_681 Depth=2
	s_delay_alu instid0(SALU_CYCLE_1) | instskip(SKIP_2) | instid1(VALU_DEP_1)
	s_or_b32 exec_lo, exec_lo, s20
	v_and_b32_e32 v30, 0xff, v2
	s_mov_b32 s20, exec_lo
	v_cmpx_ne_u16_e32 0, v30
	s_cbranch_execz .LBB4_1124
; %bb.1115:                             ;   in Loop: Header=BB4_681 Depth=2
	v_bfrev_b32_e32 v5, 1
	s_mov_b32 s21, exec_lo
	v_cmpx_ne_u16_e32 0x80, v30
	s_cbranch_execz .LBB4_1123
; %bb.1116:                             ;   in Loop: Header=BB4_681 Depth=2
	v_and_b32_e32 v5, 0x7c0000, v54
	v_bfe_u32 v30, v54, 16, 2
	s_delay_alu instid0(VALU_DEP_2) | instskip(SKIP_1) | instid1(SALU_CYCLE_1)
	v_cmp_ne_u32_e32 vcc_lo, 0x7c0000, v5
                                        ; implicit-def: $vgpr5
	s_and_saveexec_b32 s22, vcc_lo
	s_xor_b32 s22, exec_lo, s22
	s_cbranch_execz .LBB4_1120
; %bb.1117:                             ;   in Loop: Header=BB4_681 Depth=2
	v_bfe_u32 v5, v54, 18, 5
	s_mov_b32 s23, exec_lo
	s_delay_alu instid0(VALU_DEP_1)
	v_cmpx_eq_u32_e32 0, v5
; %bb.1118:                             ;   in Loop: Header=BB4_681 Depth=2
	v_clz_i32_u32_e32 v5, v30
	s_delay_alu instid0(VALU_DEP_1) | instskip(NEXT) | instid1(VALU_DEP_1)
	v_min_u32_e32 v5, 32, v5
	v_subrev_nc_u32_e32 v30, 29, v5
	s_delay_alu instid0(VALU_DEP_1) | instskip(NEXT) | instid1(VALU_DEP_1)
	v_lshlrev_b64_e32 v[118:119], v30, v[2:3]
	v_dual_sub_nc_u32 v5, 30, v5 :: v_dual_bitop2_b32 v30, 3, v118 bitop3:0x40
; %bb.1119:                             ;   in Loop: Header=BB4_681 Depth=2
	s_or_b32 exec_lo, exec_lo, s23
	v_lshlrev_b32_e32 v2, 24, v2
	s_delay_alu instid0(VALU_DEP_1) | instskip(NEXT) | instid1(VALU_DEP_1)
	v_and_b32_e32 v2, 0x80000000, v2
	v_lshl_add_u32 v2, v5, 23, v2
	s_delay_alu instid0(VALU_DEP_1) | instskip(NEXT) | instid1(VALU_DEP_1)
	v_lshl_or_b32 v2, v30, 21, v2
                                        ; implicit-def: $vgpr30
	v_add_nc_u32_e32 v5, 0x38000000, v2
                                        ; implicit-def: $vgpr2
.LBB4_1120:                             ;   in Loop: Header=BB4_681 Depth=2
	s_and_not1_saveexec_b32 s22, s22
; %bb.1121:                             ;   in Loop: Header=BB4_681 Depth=2
	v_bfe_i32 v2, v2, 0, 8
	s_delay_alu instid0(VALU_DEP_1) | instskip(SKIP_2) | instid1(VALU_DEP_2)
	v_cmp_lt_i16_e32 vcc_lo, -1, v2
	v_cndmask_b32_e32 v2, 0xff800000, v21, vcc_lo
	v_cmp_eq_u32_e32 vcc_lo, 0, v30
	v_cndmask_b32_e32 v5, 0x7f800001, v2, vcc_lo
; %bb.1122:                             ;   in Loop: Header=BB4_681 Depth=2
	s_or_b32 exec_lo, exec_lo, s22
.LBB4_1123:                             ;   in Loop: Header=BB4_681 Depth=2
	s_delay_alu instid0(SALU_CYCLE_1)
	s_or_b32 exec_lo, exec_lo, s21
.LBB4_1124:                             ;   in Loop: Header=BB4_681 Depth=2
	s_delay_alu instid0(SALU_CYCLE_1) | instskip(NEXT) | instid1(VALU_DEP_1)
	s_or_b32 exec_lo, exec_lo, s20
	v_dual_max_num_f32 v2, v5, v5 :: v_dual_max_num_f32 v3, v3, v3
	s_delay_alu instid0(VALU_DEP_1)
	v_min_num_f32_e32 v118, v3, v2
.LBB4_1125:                             ;   in Loop: Header=BB4_681 Depth=2
	s_or_b32 exec_lo, exec_lo, s8
	s_delay_alu instid0(VALU_DEP_1) | instskip(SKIP_4) | instid1(VALU_DEP_3)
	v_and_b32_e32 v40, 0x7f800000, v118
	v_dual_mov_b32 v41, v55 :: v_dual_mov_b32 v3, v55
	v_and_b32_e32 v2, 0x7fffff, v118
	v_lshrrev_b32_e32 v5, 24, v118
                                        ; implicit-def: $vgpr61
	s_mov_b32 s8, exec_lo
	v_cmpx_ne_u64_e32 0x7f800000, v[40:41]
	s_xor_b32 s20, exec_lo, s8
	s_cbranch_execz .LBB4_1139
; %bb.1126:                             ;   in Loop: Header=BB4_681 Depth=2
	v_and_b32_e32 v40, 0x7fffffff, v118
	v_mov_b32_e32 v41, v55
	v_and_b32_e32 v5, 0x80, v5
                                        ; implicit-def: $vgpr61
	s_mov_b32 s8, exec_lo
	s_delay_alu instid0(VALU_DEP_2)
	v_cmpx_gt_u64_e32 0x47600001, v[40:41]
	s_xor_b32 s21, exec_lo, s8
	s_cbranch_execz .LBB4_1136
; %bb.1127:                             ;   in Loop: Header=BB4_681 Depth=2
	v_mov_b32_e32 v61, 0
	s_mov_b32 s22, exec_lo
	v_cmpx_ne_u32_e32 0, v118
	s_cbranch_execz .LBB4_1135
; %bb.1128:                             ;   in Loop: Header=BB4_681 Depth=2
	v_bfe_u32 v30, v118, 23, 8
	v_or_b32_e32 v41, 0x800000, v2
	s_delay_alu instid0(VALU_DEP_2) | instskip(SKIP_1) | instid1(VALU_DEP_2)
	v_sub_nc_u32_e32 v118, 0x71, v30
	v_cmp_gt_u32_e32 vcc_lo, 0x72, v30
	v_cndmask_b32_e32 v118, 0, v118, vcc_lo
	v_cmp_eq_u32_e32 vcc_lo, 0, v30
	s_delay_alu instid0(VALU_DEP_2) | instskip(NEXT) | instid1(VALU_DEP_1)
	v_cndmask_b32_e64 v40, v118, 0x70, vcc_lo
	v_dual_cndmask_b32 v2, v41, v2, vcc_lo :: v_dual_add_nc_u32 v118, 21, v40
	v_add_nc_u32_e32 v61, 20, v40
	s_delay_alu instid0(VALU_DEP_2) | instskip(NEXT) | instid1(VALU_DEP_2)
	v_lshlrev_b64_e64 v[118:119], v118, -1
	v_lshlrev_b64_e64 v[62:63], v61, 1
	s_delay_alu instid0(VALU_DEP_2) | instskip(SKIP_1) | instid1(VALU_DEP_4)
	v_bfi_b32 v118, v118, 0, v2
	v_lshrrev_b64 v[2:3], v40, v[2:3]
	v_bfi_b32 v119, v119, 0, 0
	s_delay_alu instid0(VALU_DEP_1) | instskip(NEXT) | instid1(VALU_DEP_3)
	v_cmp_eq_u64_e64 s8, v[118:119], v[62:63]
	v_mov_b64_e32 v[118:119], v[2:3]
	s_and_saveexec_b32 s23, s8
; %bb.1129:                             ;   in Loop: Header=BB4_681 Depth=2
	v_bfe_u32 v118, v2, 21, 1
	v_mov_b32_e32 v119, v55
	s_delay_alu instid0(VALU_DEP_1) | instskip(NEXT) | instid1(VALU_DEP_1)
	v_add_nc_u64_e32 v[118:119], v[2:3], v[118:119]
	v_add_nc_u64_e32 v[118:119], -1, v[118:119]
; %bb.1130:                             ;   in Loop: Header=BB4_681 Depth=2
	s_or_b32 exec_lo, exec_lo, s23
	v_add_nc_u32_e32 v3, 0xffffff81, v30
	v_lshrrev_b32_e32 v30, 23, v2
	s_mov_b32 s8, exec_lo
	s_delay_alu instid0(VALU_DEP_2) | instskip(NEXT) | instid1(VALU_DEP_1)
	v_cndmask_b32_e64 v3, v3, 0xffffff82, vcc_lo
	v_add3_u32 v119, v40, v3, v30
	v_and_b32_e32 v3, 0x1fffff, v118
                                        ; implicit-def: $vgpr30
	s_delay_alu instid0(VALU_DEP_1) | instskip(SKIP_1) | instid1(VALU_DEP_2)
	v_dual_add_nc_u32 v118, 14, v119 :: v_dual_add_nc_u32 v2, v3, v2
	v_mov_b32_e32 v3, v55
	v_cmpx_ne_u32_e32 0, v118
	s_xor_b32 s8, exec_lo, s8
; %bb.1131:                             ;   in Loop: Header=BB4_681 Depth=2
	s_delay_alu instid0(VALU_DEP_2) | instskip(SKIP_1) | instid1(VALU_DEP_1)
	v_cmp_lt_u64_e32 vcc_lo, 0xffffff, v[2:3]
	v_add_nc_u32_e32 v30, 15, v119
	v_cndmask_b32_e32 v30, v118, v30, vcc_lo
	v_cndmask_b32_e64 v118, 0, 1, vcc_lo
	s_delay_alu instid0(VALU_DEP_1)
	v_lshrrev_b64 v[2:3], v118, v[2:3]
; %bb.1132:                             ;   in Loop: Header=BB4_681 Depth=2
	s_and_not1_saveexec_b32 s8, s8
; %bb.1133:                             ;   in Loop: Header=BB4_681 Depth=2
	s_delay_alu instid0(VALU_DEP_1)
	v_bfe_u32 v30, v2, 23, 1
; %bb.1134:                             ;   in Loop: Header=BB4_681 Depth=2
	s_or_b32 exec_lo, exec_lo, s8
	s_delay_alu instid0(VALU_DEP_2) | instskip(NEXT) | instid1(VALU_DEP_2)
	v_lshrrev_b64 v[2:3], 21, v[2:3]
	v_cmp_gt_i32_e32 vcc_lo, 32, v30
	v_min_i32_e32 v118, 31, v30
	v_cmp_eq_u32_e64 s8, 0, v30
	s_delay_alu instid0(VALU_DEP_2) | instskip(SKIP_1) | instid1(VALU_DEP_2)
	v_dual_cndmask_b32 v3, 0, v3 :: v_dual_lshlrev_b32 v118, 2, v118
	v_cndmask_b32_e32 v2, 3, v2, vcc_lo
	v_and_b32_e32 v118, 0xfc, v118
	s_delay_alu instid0(VALU_DEP_2) | instskip(NEXT) | instid1(VALU_DEP_2)
	v_cmp_eq_u64_e32 vcc_lo, 0, v[2:3]
	v_and_or_b32 v2, v2, 3, v118
	s_and_b32 s8, s8, vcc_lo
	s_delay_alu instid0(VALU_DEP_1) | instid1(SALU_CYCLE_1)
	v_cndmask_b32_e64 v2, v2, 0, s8
	s_delay_alu instid0(VALU_DEP_1)
	v_or_b32_e32 v61, v2, v5
.LBB4_1135:                             ;   in Loop: Header=BB4_681 Depth=2
	s_or_b32 exec_lo, exec_lo, s22
                                        ; implicit-def: $vgpr5
.LBB4_1136:                             ;   in Loop: Header=BB4_681 Depth=2
	s_and_not1_saveexec_b32 s8, s21
; %bb.1137:                             ;   in Loop: Header=BB4_681 Depth=2
	v_or_b32_e32 v61, 0x7b, v5
; %bb.1138:                             ;   in Loop: Header=BB4_681 Depth=2
	s_or_b32 exec_lo, exec_lo, s8
                                        ; implicit-def: $vgpr118
                                        ; implicit-def: $vgpr2_vgpr3
                                        ; implicit-def: $vgpr5
.LBB4_1139:                             ;   in Loop: Header=BB4_681 Depth=2
	s_and_not1_saveexec_b32 s8, s20
	s_cbranch_execz .LBB4_1145
; %bb.1140:                             ;   in Loop: Header=BB4_681 Depth=2
	s_mov_b32 s20, exec_lo
                                        ; implicit-def: $vgpr61
	v_cmpx_ne_u64_e32 0, v[2:3]
	s_xor_b32 s20, exec_lo, s20
; %bb.1141:                             ;   in Loop: Header=BB4_681 Depth=2
	v_or_b32_e32 v61, 0x7f, v5
                                        ; implicit-def: $vgpr118
; %bb.1142:                             ;   in Loop: Header=BB4_681 Depth=2
	s_and_not1_saveexec_b32 s20, s20
; %bb.1143:                             ;   in Loop: Header=BB4_681 Depth=2
	v_cmp_lt_i32_e32 vcc_lo, -1, v118
	v_cndmask_b32_e32 v61, 0xfc, v58, vcc_lo
; %bb.1144:                             ;   in Loop: Header=BB4_681 Depth=2
	s_or_b32 exec_lo, exec_lo, s20
.LBB4_1145:                             ;   in Loop: Header=BB4_681 Depth=2
	s_delay_alu instid0(SALU_CYCLE_1) | instskip(SKIP_3) | instid1(VALU_DEP_3)
	s_or_b32 exec_lo, exec_lo, s8
	v_dual_mov_b32 v40, v55 :: v_dual_mov_b32 v41, v4
	v_dual_lshrrev_b32 v30, 24, v4 :: v_dual_lshrrev_b32 v2, 24, v54
	v_dual_mov_b32 v118, v55 :: v_dual_mov_b32 v119, v54
	v_cmp_lt_u64_e32 vcc_lo, s[12:13], v[40:41]
                                        ; implicit-def: $vgpr3
	s_and_saveexec_b32 s8, s6
	s_delay_alu instid0(SALU_CYCLE_1)
	s_xor_b32 s20, exec_lo, s8
	s_cbranch_execz .LBB4_1167
; %bb.1146:                             ;   in Loop: Header=BB4_681 Depth=2
	v_dual_mov_b32 v5, 0 :: v_dual_mov_b32 v3, 0
	s_and_saveexec_b32 s21, vcc_lo
	s_cbranch_execz .LBB4_1156
; %bb.1147:                             ;   in Loop: Header=BB4_681 Depth=2
	v_bfrev_b32_e32 v3, 1
	s_mov_b32 s22, exec_lo
	v_cmpx_ne_u32_e32 0x80, v30
	s_cbranch_execz .LBB4_1155
; %bb.1148:                             ;   in Loop: Header=BB4_681 Depth=2
	v_and_b32_e32 v3, 0x7c000000, v4
	v_bfe_u32 v62, v4, 24, 2
	s_delay_alu instid0(VALU_DEP_2) | instskip(SKIP_1) | instid1(SALU_CYCLE_1)
	v_cmp_ne_u32_e64 s8, 0x7c000000, v3
                                        ; implicit-def: $vgpr3
	s_and_saveexec_b32 s23, s8
	s_xor_b32 s23, exec_lo, s23
	s_cbranch_execz .LBB4_1152
; %bb.1149:                             ;   in Loop: Header=BB4_681 Depth=2
	v_bfe_u32 v3, v4, 26, 5
	s_mov_b32 s24, exec_lo
	s_delay_alu instid0(VALU_DEP_1)
	v_cmpx_eq_u32_e32 0, v3
; %bb.1150:                             ;   in Loop: Header=BB4_681 Depth=2
	v_clz_i32_u32_e32 v3, v62
	s_delay_alu instid0(VALU_DEP_1) | instskip(NEXT) | instid1(VALU_DEP_1)
	v_min_u32_e32 v3, 32, v3
	v_subrev_nc_u32_e32 v40, 29, v3
	s_delay_alu instid0(VALU_DEP_1) | instskip(NEXT) | instid1(VALU_DEP_1)
	v_lshlrev_b64_e32 v[40:41], v40, v[30:31]
	v_dual_sub_nc_u32 v3, 30, v3 :: v_dual_bitop2_b32 v62, 3, v40 bitop3:0x40
; %bb.1151:                             ;   in Loop: Header=BB4_681 Depth=2
	s_or_b32 exec_lo, exec_lo, s24
	v_and_b32_e32 v4, 0x80000000, v4
                                        ; implicit-def: $vgpr40_vgpr41
	s_delay_alu instid0(VALU_DEP_1) | instskip(NEXT) | instid1(VALU_DEP_1)
	v_lshl_add_u32 v3, v3, 23, v4
	v_lshl_or_b32 v3, v62, 21, v3
                                        ; implicit-def: $vgpr62
	s_delay_alu instid0(VALU_DEP_1)
	v_add_nc_u32_e32 v3, 0x38000000, v3
.LBB4_1152:                             ;   in Loop: Header=BB4_681 Depth=2
	s_and_not1_saveexec_b32 s23, s23
; %bb.1153:                             ;   in Loop: Header=BB4_681 Depth=2
	v_cmp_lt_i64_e64 s8, -1, v[40:41]
	s_delay_alu instid0(VALU_DEP_1) | instskip(SKIP_1) | instid1(VALU_DEP_1)
	v_cndmask_b32_e64 v3, 0xff800000, v21, s8
	v_cmp_eq_u32_e64 s8, 0, v62
	v_cndmask_b32_e64 v3, 0x7f800001, v3, s8
; %bb.1154:                             ;   in Loop: Header=BB4_681 Depth=2
	s_or_b32 exec_lo, exec_lo, s23
.LBB4_1155:                             ;   in Loop: Header=BB4_681 Depth=2
	s_delay_alu instid0(SALU_CYCLE_1)
	s_or_b32 exec_lo, exec_lo, s22
.LBB4_1156:                             ;   in Loop: Header=BB4_681 Depth=2
	s_delay_alu instid0(SALU_CYCLE_1) | instskip(NEXT) | instid1(SALU_CYCLE_1)
	s_or_b32 exec_lo, exec_lo, s21
	s_mov_b32 s21, exec_lo
	v_cmpx_lt_u32_e32 0xffffff, v54
	s_cbranch_execz .LBB4_1166
; %bb.1157:                             ;   in Loop: Header=BB4_681 Depth=2
	v_bfrev_b32_e32 v5, 1
	s_mov_b32 s22, exec_lo
	v_cmpx_ne_u32_e32 0x80, v2
	s_cbranch_execz .LBB4_1165
; %bb.1158:                             ;   in Loop: Header=BB4_681 Depth=2
	v_and_b32_e32 v5, 0x7c000000, v54
	v_bfe_u32 v4, v54, 24, 2
	s_delay_alu instid0(VALU_DEP_2) | instskip(SKIP_1) | instid1(SALU_CYCLE_1)
	v_cmp_ne_u32_e64 s8, 0x7c000000, v5
                                        ; implicit-def: $vgpr5
	s_and_saveexec_b32 s23, s8
	s_xor_b32 s23, exec_lo, s23
	s_cbranch_execz .LBB4_1162
; %bb.1159:                             ;   in Loop: Header=BB4_681 Depth=2
	v_bfe_u32 v5, v54, 26, 5
	s_mov_b32 s24, exec_lo
	s_delay_alu instid0(VALU_DEP_1)
	v_cmpx_eq_u32_e32 0, v5
; %bb.1160:                             ;   in Loop: Header=BB4_681 Depth=2
	v_clz_i32_u32_e32 v4, v4
	s_delay_alu instid0(VALU_DEP_1) | instskip(NEXT) | instid1(VALU_DEP_1)
	v_min_u32_e32 v30, 32, v4
	v_subrev_nc_u32_e32 v4, 29, v30
	s_delay_alu instid0(VALU_DEP_1) | instskip(NEXT) | instid1(VALU_DEP_1)
	v_lshlrev_b64_e32 v[4:5], v4, v[2:3]
	v_dual_sub_nc_u32 v5, 30, v30 :: v_dual_bitop2_b32 v4, 3, v4 bitop3:0x40
; %bb.1161:                             ;   in Loop: Header=BB4_681 Depth=2
	s_or_b32 exec_lo, exec_lo, s24
	v_and_b32_e32 v2, 0x80000000, v54
                                        ; implicit-def: $vgpr118_vgpr119
	s_delay_alu instid0(VALU_DEP_1) | instskip(NEXT) | instid1(VALU_DEP_1)
	v_lshl_add_u32 v2, v5, 23, v2
	v_lshl_or_b32 v2, v4, 21, v2
                                        ; implicit-def: $vgpr4
	s_delay_alu instid0(VALU_DEP_1)
	v_add_nc_u32_e32 v5, 0x38000000, v2
.LBB4_1162:                             ;   in Loop: Header=BB4_681 Depth=2
	s_and_not1_saveexec_b32 s23, s23
; %bb.1163:                             ;   in Loop: Header=BB4_681 Depth=2
	v_cmp_lt_i64_e64 s8, -1, v[118:119]
	s_delay_alu instid0(VALU_DEP_1) | instskip(SKIP_1) | instid1(VALU_DEP_1)
	v_cndmask_b32_e64 v2, 0xff800000, v21, s8
	v_cmp_eq_u32_e64 s8, 0, v4
	v_cndmask_b32_e64 v5, 0x7f800001, v2, s8
; %bb.1164:                             ;   in Loop: Header=BB4_681 Depth=2
	s_or_b32 exec_lo, exec_lo, s23
.LBB4_1165:                             ;   in Loop: Header=BB4_681 Depth=2
	s_delay_alu instid0(SALU_CYCLE_1)
	s_or_b32 exec_lo, exec_lo, s22
.LBB4_1166:                             ;   in Loop: Header=BB4_681 Depth=2
	s_delay_alu instid0(SALU_CYCLE_1) | instskip(NEXT) | instid1(VALU_DEP_1)
	s_or_b32 exec_lo, exec_lo, s21
	v_dual_max_num_f32 v2, v5, v5 :: v_dual_max_num_f32 v3, v3, v3
                                        ; implicit-def: $vgpr30
                                        ; implicit-def: $vgpr118_vgpr119
                                        ; implicit-def: $vgpr40_vgpr41
                                        ; implicit-def: $vgpr4_vgpr5
	s_delay_alu instid0(VALU_DEP_1)
	v_max_num_f32_e32 v3, v3, v2
                                        ; implicit-def: $vgpr2
.LBB4_1167:                             ;   in Loop: Header=BB4_681 Depth=2
	s_and_not1_saveexec_b32 s8, s20
	s_cbranch_execz .LBB4_1189
; %bb.1168:                             ;   in Loop: Header=BB4_681 Depth=2
	v_dual_mov_b32 v5, 0 :: v_dual_mov_b32 v3, 0
	s_and_saveexec_b32 s20, vcc_lo
	s_cbranch_execz .LBB4_1178
; %bb.1169:                             ;   in Loop: Header=BB4_681 Depth=2
	v_bfrev_b32_e32 v3, 1
	s_mov_b32 s21, exec_lo
	v_cmpx_ne_u32_e32 0x80, v30
	s_cbranch_execz .LBB4_1177
; %bb.1170:                             ;   in Loop: Header=BB4_681 Depth=2
	v_and_b32_e32 v3, 0x7c000000, v4
	v_bfe_u32 v62, v4, 24, 2
	s_delay_alu instid0(VALU_DEP_2) | instskip(SKIP_1) | instid1(SALU_CYCLE_1)
	v_cmp_ne_u32_e32 vcc_lo, 0x7c000000, v3
                                        ; implicit-def: $vgpr3
	s_and_saveexec_b32 s22, vcc_lo
	s_xor_b32 s22, exec_lo, s22
	s_cbranch_execz .LBB4_1174
; %bb.1171:                             ;   in Loop: Header=BB4_681 Depth=2
	v_bfe_u32 v3, v4, 26, 5
	s_mov_b32 s23, exec_lo
	s_delay_alu instid0(VALU_DEP_1)
	v_cmpx_eq_u32_e32 0, v3
; %bb.1172:                             ;   in Loop: Header=BB4_681 Depth=2
	v_clz_i32_u32_e32 v3, v62
	s_delay_alu instid0(VALU_DEP_1) | instskip(NEXT) | instid1(VALU_DEP_1)
	v_min_u32_e32 v3, 32, v3
	v_subrev_nc_u32_e32 v40, 29, v3
	s_delay_alu instid0(VALU_DEP_1) | instskip(NEXT) | instid1(VALU_DEP_1)
	v_lshlrev_b64_e32 v[40:41], v40, v[30:31]
	v_dual_sub_nc_u32 v3, 30, v3 :: v_dual_bitop2_b32 v62, 3, v40 bitop3:0x40
; %bb.1173:                             ;   in Loop: Header=BB4_681 Depth=2
	s_or_b32 exec_lo, exec_lo, s23
	v_and_b32_e32 v4, 0x80000000, v4
                                        ; implicit-def: $vgpr40_vgpr41
	s_delay_alu instid0(VALU_DEP_1) | instskip(NEXT) | instid1(VALU_DEP_1)
	v_lshl_add_u32 v3, v3, 23, v4
	v_lshl_or_b32 v3, v62, 21, v3
                                        ; implicit-def: $vgpr62
	s_delay_alu instid0(VALU_DEP_1)
	v_add_nc_u32_e32 v3, 0x38000000, v3
.LBB4_1174:                             ;   in Loop: Header=BB4_681 Depth=2
	s_and_not1_saveexec_b32 s22, s22
; %bb.1175:                             ;   in Loop: Header=BB4_681 Depth=2
	v_cmp_lt_i64_e32 vcc_lo, -1, v[40:41]
	v_cndmask_b32_e32 v3, 0xff800000, v21, vcc_lo
	v_cmp_eq_u32_e32 vcc_lo, 0, v62
	s_delay_alu instid0(VALU_DEP_2)
	v_cndmask_b32_e32 v3, 0x7f800001, v3, vcc_lo
; %bb.1176:                             ;   in Loop: Header=BB4_681 Depth=2
	s_or_b32 exec_lo, exec_lo, s22
.LBB4_1177:                             ;   in Loop: Header=BB4_681 Depth=2
	s_delay_alu instid0(SALU_CYCLE_1)
	s_or_b32 exec_lo, exec_lo, s21
.LBB4_1178:                             ;   in Loop: Header=BB4_681 Depth=2
	s_delay_alu instid0(SALU_CYCLE_1) | instskip(NEXT) | instid1(SALU_CYCLE_1)
	s_or_b32 exec_lo, exec_lo, s20
	s_mov_b32 s20, exec_lo
	v_cmpx_lt_u32_e32 0xffffff, v54
	s_cbranch_execz .LBB4_1188
; %bb.1179:                             ;   in Loop: Header=BB4_681 Depth=2
	v_bfrev_b32_e32 v5, 1
	s_mov_b32 s21, exec_lo
	v_cmpx_ne_u32_e32 0x80, v2
	s_cbranch_execz .LBB4_1187
; %bb.1180:                             ;   in Loop: Header=BB4_681 Depth=2
	v_and_b32_e32 v5, 0x7c000000, v54
	v_bfe_u32 v4, v54, 24, 2
	s_delay_alu instid0(VALU_DEP_2) | instskip(SKIP_1) | instid1(SALU_CYCLE_1)
	v_cmp_ne_u32_e32 vcc_lo, 0x7c000000, v5
                                        ; implicit-def: $vgpr5
	s_and_saveexec_b32 s22, vcc_lo
	s_xor_b32 s22, exec_lo, s22
	s_cbranch_execz .LBB4_1184
; %bb.1181:                             ;   in Loop: Header=BB4_681 Depth=2
	v_bfe_u32 v5, v54, 26, 5
	s_mov_b32 s23, exec_lo
	s_delay_alu instid0(VALU_DEP_1)
	v_cmpx_eq_u32_e32 0, v5
; %bb.1182:                             ;   in Loop: Header=BB4_681 Depth=2
	v_clz_i32_u32_e32 v4, v4
	s_delay_alu instid0(VALU_DEP_1) | instskip(NEXT) | instid1(VALU_DEP_1)
	v_min_u32_e32 v30, 32, v4
	v_subrev_nc_u32_e32 v4, 29, v30
	s_delay_alu instid0(VALU_DEP_1) | instskip(NEXT) | instid1(VALU_DEP_1)
	v_lshlrev_b64_e32 v[4:5], v4, v[2:3]
	v_dual_sub_nc_u32 v5, 30, v30 :: v_dual_bitop2_b32 v4, 3, v4 bitop3:0x40
; %bb.1183:                             ;   in Loop: Header=BB4_681 Depth=2
	s_or_b32 exec_lo, exec_lo, s23
	v_and_b32_e32 v2, 0x80000000, v54
                                        ; implicit-def: $vgpr118_vgpr119
	s_delay_alu instid0(VALU_DEP_1) | instskip(NEXT) | instid1(VALU_DEP_1)
	v_lshl_add_u32 v2, v5, 23, v2
	v_lshl_or_b32 v2, v4, 21, v2
                                        ; implicit-def: $vgpr4
	s_delay_alu instid0(VALU_DEP_1)
	v_add_nc_u32_e32 v5, 0x38000000, v2
.LBB4_1184:                             ;   in Loop: Header=BB4_681 Depth=2
	s_and_not1_saveexec_b32 s22, s22
; %bb.1185:                             ;   in Loop: Header=BB4_681 Depth=2
	v_cmp_lt_i64_e32 vcc_lo, -1, v[118:119]
	v_cndmask_b32_e32 v2, 0xff800000, v21, vcc_lo
	v_cmp_eq_u32_e32 vcc_lo, 0, v4
	s_delay_alu instid0(VALU_DEP_2)
	v_cndmask_b32_e32 v5, 0x7f800001, v2, vcc_lo
; %bb.1186:                             ;   in Loop: Header=BB4_681 Depth=2
	s_or_b32 exec_lo, exec_lo, s22
.LBB4_1187:                             ;   in Loop: Header=BB4_681 Depth=2
	s_delay_alu instid0(SALU_CYCLE_1)
	s_or_b32 exec_lo, exec_lo, s21
.LBB4_1188:                             ;   in Loop: Header=BB4_681 Depth=2
	s_delay_alu instid0(SALU_CYCLE_1) | instskip(NEXT) | instid1(VALU_DEP_1)
	s_or_b32 exec_lo, exec_lo, s20
	v_dual_max_num_f32 v2, v5, v5 :: v_dual_max_num_f32 v3, v3, v3
	s_delay_alu instid0(VALU_DEP_1)
	v_min_num_f32_e32 v3, v3, v2
.LBB4_1189:                             ;   in Loop: Header=BB4_681 Depth=2
	s_or_b32 exec_lo, exec_lo, s8
	s_delay_alu instid0(VALU_DEP_1) | instskip(SKIP_2) | instid1(VALU_DEP_2)
	v_and_b32_e32 v4, 0x7f800000, v3
	v_mov_b32_e32 v5, v55
	v_and_b32_e32 v54, 0x7fffff, v3
                                        ; implicit-def: $vgpr2
	v_cmp_ne_u64_e32 vcc_lo, 0x7f800000, v[4:5]
	v_lshrrev_b32_e32 v4, 24, v3
	s_and_saveexec_b32 s8, vcc_lo
	s_delay_alu instid0(SALU_CYCLE_1)
	s_xor_b32 s20, exec_lo, s8
	s_cbranch_execz .LBB4_1203
; %bb.1190:                             ;   in Loop: Header=BB4_681 Depth=2
	v_and_b32_e32 v118, 0x7fffffff, v3
	v_mov_b32_e32 v119, v55
	v_and_b32_e32 v30, 0x80, v4
                                        ; implicit-def: $vgpr2
	s_mov_b32 s8, exec_lo
	s_delay_alu instid0(VALU_DEP_2)
	v_cmpx_gt_u64_e32 0x47600001, v[118:119]
	s_xor_b32 s21, exec_lo, s8
	s_cbranch_execz .LBB4_1200
; %bb.1191:                             ;   in Loop: Header=BB4_681 Depth=2
	v_mov_b32_e32 v2, 0
	s_mov_b32 s22, exec_lo
	v_cmpx_ne_u32_e32 0, v3
	s_cbranch_execz .LBB4_1199
; %bb.1192:                             ;   in Loop: Header=BB4_681 Depth=2
	v_bfe_u32 v118, v3, 23, 8
	v_or_b32_e32 v4, 0x800000, v54
	s_delay_alu instid0(VALU_DEP_2) | instskip(SKIP_1) | instid1(VALU_DEP_2)
	v_sub_nc_u32_e32 v2, 0x71, v118
	v_cmp_gt_u32_e32 vcc_lo, 0x72, v118
	v_cndmask_b32_e32 v2, 0, v2, vcc_lo
	v_cmp_eq_u32_e32 vcc_lo, 0, v118
	s_delay_alu instid0(VALU_DEP_2) | instskip(NEXT) | instid1(VALU_DEP_1)
	v_cndmask_b32_e64 v119, v2, 0x70, vcc_lo
	v_dual_cndmask_b32 v54, v4, v54, vcc_lo :: v_dual_add_nc_u32 v2, 21, v119
	v_add_nc_u32_e32 v5, 20, v119
	s_delay_alu instid0(VALU_DEP_2) | instskip(NEXT) | instid1(VALU_DEP_2)
	v_lshlrev_b64_e64 v[2:3], v2, -1
	v_lshlrev_b64_e64 v[4:5], v5, 1
	s_delay_alu instid0(VALU_DEP_2) | instskip(NEXT) | instid1(VALU_DEP_3)
	v_bfi_b32 v41, v3, 0, 0
	v_bfi_b32 v40, v2, 0, v54
	v_lshrrev_b64 v[2:3], v119, v[54:55]
	s_delay_alu instid0(VALU_DEP_2) | instskip(NEXT) | instid1(VALU_DEP_2)
	v_cmp_eq_u64_e64 s8, v[40:41], v[4:5]
	v_mov_b64_e32 v[4:5], v[2:3]
	s_and_saveexec_b32 s23, s8
; %bb.1193:                             ;   in Loop: Header=BB4_681 Depth=2
	v_bfe_u32 v54, v2, 21, 1
	s_delay_alu instid0(VALU_DEP_1) | instskip(NEXT) | instid1(VALU_DEP_1)
	v_add_nc_u64_e32 v[4:5], v[2:3], v[54:55]
	v_add_nc_u64_e32 v[4:5], -1, v[4:5]
; %bb.1194:                             ;   in Loop: Header=BB4_681 Depth=2
	s_or_b32 exec_lo, exec_lo, s23
	v_add_nc_u32_e32 v3, 0xffffff81, v118
	v_lshrrev_b32_e32 v5, 23, v2
	s_mov_b32 s8, exec_lo
	s_delay_alu instid0(VALU_DEP_2) | instskip(NEXT) | instid1(VALU_DEP_1)
	v_cndmask_b32_e64 v3, v3, 0xffffff82, vcc_lo
	v_add3_u32 v5, v119, v3, v5
	v_and_b32_e32 v3, 0x1fffff, v4
                                        ; implicit-def: $vgpr4
	s_delay_alu instid0(VALU_DEP_1) | instskip(NEXT) | instid1(VALU_DEP_1)
	v_dual_add_nc_u32 v118, 14, v5 :: v_dual_add_nc_u32 v54, v3, v2
                                        ; implicit-def: $vgpr2_vgpr3
	v_cmpx_ne_u32_e32 0, v118
	s_xor_b32 s8, exec_lo, s8
; %bb.1195:                             ;   in Loop: Header=BB4_681 Depth=2
	s_delay_alu instid0(VALU_DEP_2) | instskip(SKIP_1) | instid1(VALU_DEP_1)
	v_cmp_lt_u64_e32 vcc_lo, 0xffffff, v[54:55]
	v_add_nc_u32_e32 v2, 15, v5
	v_cndmask_b32_e32 v4, v118, v2, vcc_lo
	v_cndmask_b32_e64 v2, 0, 1, vcc_lo
	s_delay_alu instid0(VALU_DEP_1)
	v_lshrrev_b64 v[2:3], v2, v[54:55]
; %bb.1196:                             ;   in Loop: Header=BB4_681 Depth=2
	s_and_not1_saveexec_b32 s8, s8
; %bb.1197:                             ;   in Loop: Header=BB4_681 Depth=2
	v_mov_b64_e32 v[2:3], v[54:55]
	v_bfe_u32 v4, v54, 23, 1
; %bb.1198:                             ;   in Loop: Header=BB4_681 Depth=2
	s_or_b32 exec_lo, exec_lo, s8
	s_delay_alu instid0(VALU_DEP_2) | instskip(NEXT) | instid1(VALU_DEP_2)
	v_lshrrev_b64 v[2:3], 21, v[2:3]
	v_cmp_gt_i32_e32 vcc_lo, 32, v4
	v_min_i32_e32 v5, 31, v4
	v_cmp_eq_u32_e64 s8, 0, v4
	s_delay_alu instid0(VALU_DEP_2) | instskip(SKIP_1) | instid1(VALU_DEP_2)
	v_dual_cndmask_b32 v3, 0, v3, vcc_lo :: v_dual_lshlrev_b32 v5, 2, v5
	v_cndmask_b32_e32 v2, 3, v2, vcc_lo
	v_and_b32_e32 v5, 0xfc, v5
	s_delay_alu instid0(VALU_DEP_2) | instskip(NEXT) | instid1(VALU_DEP_2)
	v_cmp_eq_u64_e32 vcc_lo, 0, v[2:3]
	v_and_or_b32 v2, v2, 3, v5
	s_and_b32 s8, s8, vcc_lo
	s_delay_alu instid0(VALU_DEP_1) | instid1(SALU_CYCLE_1)
	v_cndmask_b32_e64 v2, v2, 0, s8
	s_delay_alu instid0(VALU_DEP_1)
	v_or_b32_e32 v2, v2, v30
.LBB4_1199:                             ;   in Loop: Header=BB4_681 Depth=2
	s_or_b32 exec_lo, exec_lo, s22
                                        ; implicit-def: $vgpr30
.LBB4_1200:                             ;   in Loop: Header=BB4_681 Depth=2
	s_and_not1_saveexec_b32 s8, s21
; %bb.1201:                             ;   in Loop: Header=BB4_681 Depth=2
	v_or_b32_e32 v2, 0x7b, v30
; %bb.1202:                             ;   in Loop: Header=BB4_681 Depth=2
	s_or_b32 exec_lo, exec_lo, s8
                                        ; implicit-def: $vgpr3
                                        ; implicit-def: $vgpr4
.LBB4_1203:                             ;   in Loop: Header=BB4_681 Depth=2
	s_and_not1_saveexec_b32 s8, s20
	s_cbranch_execz .LBB4_1209
; %bb.1204:                             ;   in Loop: Header=BB4_681 Depth=2
	s_mov_b32 s20, exec_lo
                                        ; implicit-def: $vgpr2
	v_cmpx_ne_u64_e32 0, v[54:55]
	s_xor_b32 s20, exec_lo, s20
; %bb.1205:                             ;   in Loop: Header=BB4_681 Depth=2
	v_or_b32_e32 v2, 0x7f, v4
                                        ; implicit-def: $vgpr3
; %bb.1206:                             ;   in Loop: Header=BB4_681 Depth=2
	s_and_not1_saveexec_b32 s20, s20
; %bb.1207:                             ;   in Loop: Header=BB4_681 Depth=2
	v_cmp_lt_i32_e32 vcc_lo, -1, v3
	v_cndmask_b32_e32 v2, 0xfc, v58, vcc_lo
; %bb.1208:                             ;   in Loop: Header=BB4_681 Depth=2
	s_or_b32 exec_lo, exec_lo, s20
.LBB4_1209:                             ;   in Loop: Header=BB4_681 Depth=2
	s_delay_alu instid0(SALU_CYCLE_1) | instskip(SKIP_1) | instid1(VALU_DEP_2)
	s_or_b32 exec_lo, exec_lo, s8
	v_dual_lshlrev_b32 v3, 16, v44 :: v_dual_lshlrev_b32 v4, 16, v61
	v_dual_lshlrev_b32 v5, 24, v47 :: v_dual_lshlrev_b32 v30, 24, v2
	v_cmp_lt_u32_e32 vcc_lo, 7, v60
	s_delay_alu instid0(VALU_DEP_3) | instskip(NEXT) | instid1(VALU_DEP_4)
	v_lshl_or_b32 v2, v43, 8, v3
	v_lshl_or_b32 v3, v46, 8, v4
	s_mov_b32 s8, -1
	s_cmp_lg_u32 vcc_lo, exec_lo
	s_delay_alu instid0(VALU_DEP_2) | instskip(NEXT) | instid1(VALU_DEP_2)
	v_or3_b32 v2, v2, v5, v117
	v_or3_b32 v3, v3, v30, v45
	s_cbranch_scc0 .LBB4_1225
; %bb.1210:                             ;   in Loop: Header=BB4_681 Depth=2
	s_mov_b32 s20, exec_lo
	flat_store_b8 v[18:19], v117
	s_wait_xcnt 0x0
	v_cmpx_ne_u32_e32 1, v60
	s_cbranch_execz .LBB4_1212
; %bb.1211:                             ;   in Loop: Header=BB4_681 Depth=2
	v_lshrrev_b32_e32 v4, 8, v2
	flat_store_b8 v[18:19], v4 offset:1
.LBB4_1212:                             ;   in Loop: Header=BB4_681 Depth=2
	s_wait_xcnt 0x0
	s_or_b32 exec_lo, exec_lo, s20
	s_delay_alu instid0(SALU_CYCLE_1)
	s_mov_b32 s20, exec_lo
	v_cmpx_lt_u32_e32 2, v60
	s_cbranch_execz .LBB4_1214
; %bb.1213:                             ;   in Loop: Header=BB4_681 Depth=2
	flat_store_d16_hi_b8 v[18:19], v2 offset:2
.LBB4_1214:                             ;   in Loop: Header=BB4_681 Depth=2
	s_wait_xcnt 0x0
	s_or_b32 exec_lo, exec_lo, s20
	s_delay_alu instid0(SALU_CYCLE_1)
	s_mov_b32 s20, exec_lo
	v_cmpx_lt_u32_e32 3, v60
	s_cbranch_execz .LBB4_1216
; %bb.1215:                             ;   in Loop: Header=BB4_681 Depth=2
	v_lshrrev_b32_e32 v4, 24, v2
	flat_store_b8 v[18:19], v4 offset:3
.LBB4_1216:                             ;   in Loop: Header=BB4_681 Depth=2
	s_wait_xcnt 0x0
	s_or_b32 exec_lo, exec_lo, s20
	s_delay_alu instid0(SALU_CYCLE_1)
	s_mov_b32 s20, exec_lo
	v_cmpx_lt_u32_e32 4, v60
	s_cbranch_execz .LBB4_1218
; %bb.1217:                             ;   in Loop: Header=BB4_681 Depth=2
	flat_store_b8 v[18:19], v45 offset:4
.LBB4_1218:                             ;   in Loop: Header=BB4_681 Depth=2
	s_wait_xcnt 0x0
	s_or_b32 exec_lo, exec_lo, s20
	s_delay_alu instid0(SALU_CYCLE_1)
	s_mov_b32 s20, exec_lo
	v_cmpx_lt_u32_e32 5, v60
	s_cbranch_execz .LBB4_1220
; %bb.1219:                             ;   in Loop: Header=BB4_681 Depth=2
	v_lshrrev_b32_e32 v4, 8, v3
	flat_store_b8 v[18:19], v4 offset:5
.LBB4_1220:                             ;   in Loop: Header=BB4_681 Depth=2
	s_wait_xcnt 0x0
	s_or_b32 exec_lo, exec_lo, s20
	s_delay_alu instid0(SALU_CYCLE_1)
	s_mov_b32 s20, exec_lo
	v_cmpx_lt_u32_e32 6, v60
	s_cbranch_execz .LBB4_1222
; %bb.1221:                             ;   in Loop: Header=BB4_681 Depth=2
	flat_store_d16_hi_b8 v[18:19], v3 offset:6
.LBB4_1222:                             ;   in Loop: Header=BB4_681 Depth=2
	s_wait_xcnt 0x0
	s_or_b32 exec_lo, exec_lo, s20
	s_and_saveexec_b32 s8, vcc_lo
	s_cbranch_execz .LBB4_1224
; %bb.1223:                             ;   in Loop: Header=BB4_681 Depth=2
	v_lshrrev_b32_e32 v4, 24, v3
	flat_store_b8 v[18:19], v4 offset:7
.LBB4_1224:                             ;   in Loop: Header=BB4_681 Depth=2
	s_wait_xcnt 0x0
	s_or_b32 exec_lo, exec_lo, s8
	s_mov_b32 s8, 0
.LBB4_1225:                             ;   in Loop: Header=BB4_681 Depth=2
	s_delay_alu instid0(SALU_CYCLE_1)
	s_and_b32 vcc_lo, exec_lo, s8
	s_cbranch_vccz .LBB4_680
; %bb.1226:                             ;   in Loop: Header=BB4_681 Depth=2
	global_store_b64 v[18:19], v[2:3], off
	s_branch .LBB4_680
.LBB4_1227:                             ;   in Loop: Header=BB4_36 Depth=1
	s_or_b32 exec_lo, exec_lo, s19
	s_delay_alu instid0(SALU_CYCLE_1)
	s_or_b32 exec_lo, exec_lo, s9
	s_and_saveexec_b32 s8, s3
	s_cbranch_execz .LBB4_678
.LBB4_1228:                             ;   in Loop: Header=BB4_36 Depth=1
	s_and_saveexec_b32 s9, s4
	s_delay_alu instid0(SALU_CYCLE_1)
	s_xor_b32 s9, exec_lo, s9
	s_cbranch_execz .LBB4_1243
; %bb.1229:                             ;   in Loop: Header=BB4_36 Depth=1
	s_and_saveexec_b32 s19, s5
	s_cbranch_execz .LBB4_1242
; %bb.1230:                             ;   in Loop: Header=BB4_36 Depth=1
	s_mov_b32 s21, exec_lo
	s_mov_b32 s20, exec_lo
	v_mbcnt_lo_u32_b32 v2, s21, 0
	global_wb scope:SCOPE_DEV
	s_wait_storecnt 0x0
	s_wait_loadcnt_dscnt 0x0
	global_inv scope:SCOPE_DEV
	v_cmpx_eq_u32_e32 0, v2
	s_cbranch_execz .LBB4_1232
; %bb.1231:                             ;   in Loop: Header=BB4_36 Depth=1
	s_bcnt1_i32_b32 s21, s21
	s_delay_alu instid0(SALU_CYCLE_1)
	v_mov_b32_e32 v54, s21
	s_wait_loadcnt 0x0
	ds_add_u64 v0, v[54:55]
	s_trap 2
.LBB4_1232:                             ;   in Loop: Header=BB4_36 Depth=1
	s_or_b32 exec_lo, exec_lo, s20
	s_trap 2
	ds_load_b64 v[2:3], v0
	s_wait_dscnt 0x0
	v_add_nc_u64_e32 v[52:53], v[52:53], v[82:83]
	s_mov_b32 s20, exec_lo
	s_delay_alu instid0(VALU_DEP_1)
	v_cmpx_lt_u64_e64 v[2:3], v[52:53]
	s_cbranch_execz .LBB4_1241
; %bb.1233:                             ;   in Loop: Header=BB4_36 Depth=1
	s_mov_b32 s21, 0
	s_mov_b32 s24, 0
                                        ; implicit-def: $sgpr22
                                        ; implicit-def: $sgpr23
	s_branch .LBB4_1235
.LBB4_1234:                             ;   in Loop: Header=BB4_1235 Depth=2
	s_or_b32 exec_lo, exec_lo, s26
	s_delay_alu instid0(SALU_CYCLE_1) | instskip(NEXT) | instid1(SALU_CYCLE_1)
	s_and_b32 s25, exec_lo, s27
	s_or_b32 s21, s25, s21
	s_and_not1_b32 s22, s22, exec_lo
	s_and_b32 s25, s23, exec_lo
	s_delay_alu instid0(SALU_CYCLE_1)
	s_or_b32 s22, s22, s25
	s_and_not1_b32 exec_lo, exec_lo, s21
	s_cbranch_execz .LBB4_1239
.LBB4_1235:                             ;   Parent Loop BB4_36 Depth=1
                                        ; =>  This Inner Loop Header: Depth=2
	s_add_co_i32 s24, s24, 1
	s_delay_alu instid0(SALU_CYCLE_1) | instskip(SKIP_1) | instid1(SALU_CYCLE_1)
	s_cmp_lg_u32 s24, 0x2710
	s_cselect_b32 s25, -1, 0
	s_and_b32 vcc_lo, exec_lo, s25
	s_cbranch_vccz .LBB4_1237
; %bb.1236:                             ;   in Loop: Header=BB4_1235 Depth=2
	s_mov_b32 s27, -1
	s_or_b32 s23, s23, exec_lo
	s_and_saveexec_b32 s26, s25
	s_cbranch_execz .LBB4_1234
	s_branch .LBB4_1238
.LBB4_1237:                             ;   in Loop: Header=BB4_1235 Depth=2
	s_trap 2
	ds_load_b64 v[2:3], v0
	s_and_not1_b32 s25, s25, exec_lo
	s_mov_b32 s24, 0
	s_wait_loadcnt_dscnt 0x0
	flat_load_b32 v2, v[2:3] scope:SCOPE_SYS
	s_wait_loadcnt_dscnt 0x0
	global_inv scope:SCOPE_SYS
	v_cmp_eq_u32_e32 vcc_lo, 0, v2
	s_and_b32 s26, vcc_lo, exec_lo
	s_delay_alu instid0(SALU_CYCLE_1)
	s_or_b32 s25, s25, s26
	s_mov_b32 s27, -1
	s_or_b32 s23, s23, exec_lo
	s_and_saveexec_b32 s26, s25
	s_cbranch_execz .LBB4_1234
.LBB4_1238:                             ;   in Loop: Header=BB4_1235 Depth=2
	s_sleep 1
	s_trap 2
	ds_load_b64 v[2:3], v0
	s_wait_dscnt 0x0
	s_and_not1_b32 s23, s23, exec_lo
	v_cmp_ge_u64_e32 vcc_lo, v[2:3], v[52:53]
	s_or_not1_b32 s27, vcc_lo, exec_lo
	s_branch .LBB4_1234
.LBB4_1239:                             ;   in Loop: Header=BB4_36 Depth=1
	s_or_b32 exec_lo, exec_lo, s21
	s_and_saveexec_b32 s21, s22
	s_delay_alu instid0(SALU_CYCLE_1)
	s_xor_b32 s21, exec_lo, s21
	s_cbranch_execz .LBB4_1241
; %bb.1240:                             ;   in Loop: Header=BB4_36 Depth=1
	ds_store_b32 v0, v1
	s_trap 2
.LBB4_1241:                             ;   in Loop: Header=BB4_36 Depth=1
	s_or_b32 exec_lo, exec_lo, s20
	;;#ASMSTART
	s_wakeup
	;;#ASMEND
.LBB4_1242:                             ;   in Loop: Header=BB4_36 Depth=1
	s_or_b32 exec_lo, exec_lo, s19
.LBB4_1243:                             ;   in Loop: Header=BB4_36 Depth=1
	s_and_not1_saveexec_b32 s9, s9
	s_cbranch_execz .LBB4_1245
; %bb.1244:                             ;   in Loop: Header=BB4_36 Depth=1
	global_wb scope:SCOPE_DEV
	s_wait_storecnt 0x0
	s_wait_loadcnt_dscnt 0x0
	global_inv scope:SCOPE_DEV
	s_barrier_signal -1
	s_barrier_wait -1
.LBB4_1245:                             ;   in Loop: Header=BB4_36 Depth=1
	s_or_b32 exec_lo, exec_lo, s9
	s_delay_alu instid0(SALU_CYCLE_1)
	s_or_b32 exec_lo, exec_lo, s8
	s_and_saveexec_b32 s8, s7
	s_cbranch_execz .LBB4_35
.LBB4_1246:                             ;   in Loop: Header=BB4_36 Depth=1
	v_add_nc_u64_e32 v[38:39], 1, v[38:39]
	global_wb scope:SCOPE_SYS
	s_wait_storecnt 0x0
	s_wait_loadcnt_dscnt 0x0
	flat_store_b64 v[48:49], v[38:39] scope:SCOPE_SYS
	s_branch .LBB4_35
.LBB4_1247:
	s_or_b32 exec_lo, exec_lo, s17
	s_delay_alu instid0(SALU_CYCLE_1)
	s_or_b32 exec_lo, exec_lo, s15
	s_and_saveexec_b32 s1, s14
	s_cbranch_execz .LBB4_20
.LBB4_1248:
	s_wait_dscnt 0x0
	flat_store_b64 v[28:29], v[38:39] offset:104
	s_wait_xcnt 0x0
	s_or_b32 exec_lo, exec_lo, s1
	s_and_saveexec_b32 s1, s0
	s_cbranch_execnz .LBB4_21
	s_branch .LBB4_22
.LBB4_1249:
	s_or_b32 exec_lo, exec_lo, s4
	s_and_saveexec_b32 s4, s5
	s_delay_alu instid0(SALU_CYCLE_1)
	s_xor_b32 s4, exec_lo, s4
	s_cbranch_execz .LBB4_1251
; %bb.1250:
	v_mov_b32_e32 v0, 1
	ds_store_b32 v0, v0
	s_trap 2
.LBB4_1251:
	s_or_b32 exec_lo, exec_lo, s3
	;;#ASMSTART
	s_wakeup
	;;#ASMEND
.LBB4_1252:
	s_or_b32 exec_lo, exec_lo, s2
.LBB4_1253:
	s_and_not1_saveexec_b32 s1, s1
	s_cbranch_execz .LBB4_1255
; %bb.1254:
	global_wb scope:SCOPE_DEV
	s_wait_storecnt 0x0
	s_wait_loadcnt_dscnt 0x0
	global_inv scope:SCOPE_DEV
	s_barrier_signal -1
	s_barrier_wait -1
.LBB4_1255:
	s_or_b32 exec_lo, exec_lo, s0
	s_clause 0x17
	scratch_load_b32 v79, off, s32
	scratch_load_b32 v78, off, s32 offset:4
	scratch_load_b32 v77, off, s32 offset:8
	;; [unrolled: 1-line block ×23, first 2 shown]
	s_wait_loadcnt_dscnt 0x0
	s_set_pc_i64 s[30:31]
.Lfunc_end4:
	.size	_ZN12_GLOBAL__N_17runRingI14__hip_fp8_e5m210FuncMinMaxIS1_E7ProtoLLLi0ELi4ELi0EEEviiP15ncclDevWorkColl, .Lfunc_end4-_ZN12_GLOBAL__N_17runRingI14__hip_fp8_e5m210FuncMinMaxIS1_E7ProtoLLLi0ELi4ELi0EEEviiP15ncclDevWorkColl
                                        ; -- End function
	.set .L_ZN12_GLOBAL__N_17runRingI14__hip_fp8_e5m210FuncMinMaxIS1_E7ProtoLLLi0ELi4ELi0EEEviiP15ncclDevWorkColl.num_vgpr, 120
	.set .L_ZN12_GLOBAL__N_17runRingI14__hip_fp8_e5m210FuncMinMaxIS1_E7ProtoLLLi0ELi4ELi0EEEviiP15ncclDevWorkColl.num_agpr, 0
	.set .L_ZN12_GLOBAL__N_17runRingI14__hip_fp8_e5m210FuncMinMaxIS1_E7ProtoLLLi0ELi4ELi0EEEviiP15ncclDevWorkColl.numbered_sgpr, 42
	.set .L_ZN12_GLOBAL__N_17runRingI14__hip_fp8_e5m210FuncMinMaxIS1_E7ProtoLLLi0ELi4ELi0EEEviiP15ncclDevWorkColl.num_named_barrier, 0
	.set .L_ZN12_GLOBAL__N_17runRingI14__hip_fp8_e5m210FuncMinMaxIS1_E7ProtoLLLi0ELi4ELi0EEEviiP15ncclDevWorkColl.private_seg_size, 100
	.set .L_ZN12_GLOBAL__N_17runRingI14__hip_fp8_e5m210FuncMinMaxIS1_E7ProtoLLLi0ELi4ELi0EEEviiP15ncclDevWorkColl.uses_vcc, 1
	.set .L_ZN12_GLOBAL__N_17runRingI14__hip_fp8_e5m210FuncMinMaxIS1_E7ProtoLLLi0ELi4ELi0EEEviiP15ncclDevWorkColl.uses_flat_scratch, 1
	.set .L_ZN12_GLOBAL__N_17runRingI14__hip_fp8_e5m210FuncMinMaxIS1_E7ProtoLLLi0ELi4ELi0EEEviiP15ncclDevWorkColl.has_dyn_sized_stack, 0
	.set .L_ZN12_GLOBAL__N_17runRingI14__hip_fp8_e5m210FuncMinMaxIS1_E7ProtoLLLi0ELi4ELi0EEEviiP15ncclDevWorkColl.has_recursion, 0
	.set .L_ZN12_GLOBAL__N_17runRingI14__hip_fp8_e5m210FuncMinMaxIS1_E7ProtoLLLi0ELi4ELi0EEEviiP15ncclDevWorkColl.has_indirect_call, 0
	.section	.AMDGPU.csdata,"",@progbits
; Function info:
; codeLenInByte = 34952
; TotalNumSgprs: 44
; NumVgprs: 120
; ScratchSize: 100
; MemoryBound: 0
	.text
	.p2align	2                               ; -- Begin function _Z53ncclDevFunc_ReduceScatter_RING_LL_MinMax_f8e5m2_0_0_4v
	.type	_Z53ncclDevFunc_ReduceScatter_RING_LL_MinMax_f8e5m2_0_0_4v,@function
_Z53ncclDevFunc_ReduceScatter_RING_LL_MinMax_f8e5m2_0_0_4v: ; @_Z53ncclDevFunc_ReduceScatter_RING_LL_MinMax_f8e5m2_0_0_4v
; %bb.0:
	s_wait_loadcnt_dscnt 0x0
	s_wait_kmcnt 0x0
	s_mov_b32 s57, s33
	s_mov_b32 s33, s32
	s_or_saveexec_b32 s0, -1
	scratch_store_b32 off, v41, s33 offset:4 ; 4-byte Folded Spill
	s_wait_xcnt 0x0
	s_mov_b32 exec_lo, s0
	s_add_co_i32 s32, s32, 16
	scratch_store_b32 off, v40, s33         ; 4-byte Folded Spill
	v_writelane_b32 v41, s30, 0
	v_writelane_b32 v41, s31, 1
	s_trap 2
	ds_load_b32 v0, v0
	s_wait_xcnt 0x0
	v_and_b32_e32 v40, 0x3ff, v31
	s_mov_b32 s44, s12
	s_mov_b64 s[42:43], s[8:9]
	s_mov_b32 s2, exec_lo
	s_wait_dscnt 0x0
	v_cmpx_lt_i32_e64 v40, v0
	s_cbranch_execz .LBB5_5
; %bb.1:
	s_load_b32 s0, s[42:43], 0x0
	s_bfe_u32 s1, ttmp6, 0x4000c
	s_and_b32 s3, ttmp6, 15
	s_add_co_i32 s1, s1, 1
	s_getreg_b32 s4, hwreg(HW_REG_IB_STS2, 6, 4)
	s_mul_i32 s1, ttmp9, s1
	v_mov_b32_e32 v2, v40
	s_add_co_i32 s3, s3, s1
	s_cmp_eq_u32 s4, 0
                                        ; implicit-def: $vgpr3
	s_cselect_b32 s1, ttmp9, s3
	s_mov_b32 s3, 0
	s_wait_kmcnt 0x0
	s_cmp_lt_u32 s1, s0
	s_mov_b32 s1, 0
	s_cselect_b32 s0, 12, 18
	s_delay_alu instid0(SALU_CYCLE_1)
	s_add_nc_u64 s[4:5], s[42:43], s[0:1]
	s_load_u16 s0, s[4:5], 0x0
	s_trap 2
	ds_load_b32 v1, v0
	s_wait_dscnt 0x0
	s_wait_kmcnt 0x0
	v_mul_lo_u32 v1, v1, s0
	s_branch .LBB5_3
.LBB5_2:                                ;   in Loop: Header=BB5_3 Depth=1
	s_or_b32 exec_lo, exec_lo, s4
	v_dual_add_nc_u32 v2, s0, v2 :: v_dual_add_nc_u32 v3, v3, v1
	s_delay_alu instid0(VALU_DEP_1) | instskip(SKIP_1) | instid1(SALU_CYCLE_1)
	v_cmp_ge_i32_e32 vcc_lo, v2, v0
	s_or_b32 s3, vcc_lo, s3
	s_and_not1_b32 exec_lo, exec_lo, s3
	s_cbranch_execz .LBB5_5
.LBB5_3:                                ; =>This Inner Loop Header: Depth=1
	ds_load_b32 v4, v3
	s_mov_b32 s4, exec_lo
	s_wait_dscnt 0x0
	v_and_b32_e32 v4, 0x1000000, v4
	s_delay_alu instid0(VALU_DEP_1)
	v_cmpx_ne_u32_e32 0, v4
	s_cbranch_execz .LBB5_2
; %bb.4:                                ;   in Loop: Header=BB5_3 Depth=1
	ds_load_b64 v[4:5], v3 offset:104
	s_wait_dscnt 0x0
	flat_load_u8 v4, v[4:5]
	s_wait_xcnt 0x0
	v_mov_b32_e32 v5, s1
	s_wait_loadcnt_dscnt 0x0
	v_and_b32_e32 v4, 0xffff, v4
	ds_store_b64 v3, v[4:5] offset:104
	s_branch .LBB5_2
.LBB5_5:
	s_or_b32 exec_lo, exec_lo, s2
	s_wait_storecnt_dscnt 0x0
	s_barrier_signal -1
	s_barrier_wait -1
	s_trap 2
	ds_load_b32 v0, v0
	s_wait_dscnt 0x0
	v_cmp_gt_i32_e32 vcc_lo, 1, v0
	s_cbranch_vccnz .LBB5_13
; %bb.6:
	s_mov_b32 s45, 0
	s_get_pc_i64 s[46:47]
	s_add_nc_u64 s[46:47], s[46:47], _ZN12_GLOBAL__N_17runRingI14__hip_fp8_e5m210FuncMinMaxIS1_E7ProtoLLLi0ELi4ELi0EEEviiP15ncclDevWorkColl@rel64+4
	s_branch .LBB5_8
.LBB5_7:                                ;   in Loop: Header=BB5_8 Depth=1
	s_or_b32 exec_lo, exec_lo, s56
	s_trap 2
	ds_load_b32 v0, v0
	s_add_co_i32 s45, s45, 1
	s_wait_dscnt 0x0
	v_cmp_lt_i32_e32 vcc_lo, s45, v0
	s_cbranch_vccz .LBB5_13
.LBB5_8:                                ; =>This Inner Loop Header: Depth=1
	s_trap 2
	ds_load_b32 v0, v0
	s_cmp_eq_u32 s45, 0
	s_cbranch_scc1 .LBB5_11
; %bb.9:                                ;   in Loop: Header=BB5_8 Depth=1
	s_trap 2
	s_wait_dscnt 0x0
	ds_load_b32 v1, v0
	s_wait_dscnt 0x0
	v_xor_b32_e32 v1, v1, v0
	s_delay_alu instid0(VALU_DEP_1) | instskip(NEXT) | instid1(VALU_DEP_1)
	v_and_b32_e32 v1, 0xff0000, v1
	v_cmp_eq_u32_e32 vcc_lo, 0, v1
	s_cbranch_vccnz .LBB5_11
; %bb.10:                               ;   in Loop: Header=BB5_8 Depth=1
	s_barrier_signal -1
	s_barrier_wait -1
	ds_load_b32 v0, v0
.LBB5_11:                               ;   in Loop: Header=BB5_8 Depth=1
	s_wait_dscnt 0x0
	v_lshrrev_b32_e32 v0, 11, v0
	s_mov_b32 s56, exec_lo
	s_delay_alu instid0(VALU_DEP_1) | instskip(NEXT) | instid1(VALU_DEP_1)
	v_and_b32_e32 v1, 0x1fe0, v0
	v_cmpx_lt_u32_e64 v40, v1
	s_cbranch_execz .LBB5_7
; %bb.12:                               ;   in Loop: Header=BB5_8 Depth=1
	s_mov_b64 s[0:1], src_shared_base
	s_delay_alu instid0(SALU_CYCLE_1)
	v_dual_mov_b32 v0, v40 :: v_dual_mov_b32 v3, s1
	s_mov_b64 s[8:9], s[42:43]
	s_mov_b32 s12, s44
	s_swap_pc_i64 s[30:31], s[46:47]
	s_branch .LBB5_7
.LBB5_13:
	scratch_load_b32 v40, off, s33          ; 4-byte Folded Reload
	v_readlane_b32 s30, v41, 0
	v_readlane_b32 s31, v41, 1
	s_mov_b32 s32, s33
	s_wait_xcnt 0x0
	s_or_saveexec_b32 s0, -1
	scratch_load_b32 v41, off, s33 offset:4 ; 4-byte Folded Reload
	s_wait_xcnt 0x0
	s_mov_b32 exec_lo, s0
	s_mov_b32 s33, s57
	s_wait_loadcnt 0x0
	s_set_pc_i64 s[30:31]
.Lfunc_end5:
	.size	_Z53ncclDevFunc_ReduceScatter_RING_LL_MinMax_f8e5m2_0_0_4v, .Lfunc_end5-_Z53ncclDevFunc_ReduceScatter_RING_LL_MinMax_f8e5m2_0_0_4v
                                        ; -- End function
	.set .L_Z53ncclDevFunc_ReduceScatter_RING_LL_MinMax_f8e5m2_0_0_4v.num_vgpr, max(42, .L_ZN12_GLOBAL__N_17runRingI14__hip_fp8_e5m210FuncMinMaxIS1_E7ProtoLLLi0ELi4ELi0EEEviiP15ncclDevWorkColl.num_vgpr)
	.set .L_Z53ncclDevFunc_ReduceScatter_RING_LL_MinMax_f8e5m2_0_0_4v.num_agpr, max(0, .L_ZN12_GLOBAL__N_17runRingI14__hip_fp8_e5m210FuncMinMaxIS1_E7ProtoLLLi0ELi4ELi0EEEviiP15ncclDevWorkColl.num_agpr)
	.set .L_Z53ncclDevFunc_ReduceScatter_RING_LL_MinMax_f8e5m2_0_0_4v.numbered_sgpr, max(58, .L_ZN12_GLOBAL__N_17runRingI14__hip_fp8_e5m210FuncMinMaxIS1_E7ProtoLLLi0ELi4ELi0EEEviiP15ncclDevWorkColl.numbered_sgpr)
	.set .L_Z53ncclDevFunc_ReduceScatter_RING_LL_MinMax_f8e5m2_0_0_4v.num_named_barrier, max(0, .L_ZN12_GLOBAL__N_17runRingI14__hip_fp8_e5m210FuncMinMaxIS1_E7ProtoLLLi0ELi4ELi0EEEviiP15ncclDevWorkColl.num_named_barrier)
	.set .L_Z53ncclDevFunc_ReduceScatter_RING_LL_MinMax_f8e5m2_0_0_4v.private_seg_size, 16+max(.L_ZN12_GLOBAL__N_17runRingI14__hip_fp8_e5m210FuncMinMaxIS1_E7ProtoLLLi0ELi4ELi0EEEviiP15ncclDevWorkColl.private_seg_size)
	.set .L_Z53ncclDevFunc_ReduceScatter_RING_LL_MinMax_f8e5m2_0_0_4v.uses_vcc, or(1, .L_ZN12_GLOBAL__N_17runRingI14__hip_fp8_e5m210FuncMinMaxIS1_E7ProtoLLLi0ELi4ELi0EEEviiP15ncclDevWorkColl.uses_vcc)
	.set .L_Z53ncclDevFunc_ReduceScatter_RING_LL_MinMax_f8e5m2_0_0_4v.uses_flat_scratch, or(0, .L_ZN12_GLOBAL__N_17runRingI14__hip_fp8_e5m210FuncMinMaxIS1_E7ProtoLLLi0ELi4ELi0EEEviiP15ncclDevWorkColl.uses_flat_scratch)
	.set .L_Z53ncclDevFunc_ReduceScatter_RING_LL_MinMax_f8e5m2_0_0_4v.has_dyn_sized_stack, or(0, .L_ZN12_GLOBAL__N_17runRingI14__hip_fp8_e5m210FuncMinMaxIS1_E7ProtoLLLi0ELi4ELi0EEEviiP15ncclDevWorkColl.has_dyn_sized_stack)
	.set .L_Z53ncclDevFunc_ReduceScatter_RING_LL_MinMax_f8e5m2_0_0_4v.has_recursion, or(1, .L_ZN12_GLOBAL__N_17runRingI14__hip_fp8_e5m210FuncMinMaxIS1_E7ProtoLLLi0ELi4ELi0EEEviiP15ncclDevWorkColl.has_recursion)
	.set .L_Z53ncclDevFunc_ReduceScatter_RING_LL_MinMax_f8e5m2_0_0_4v.has_indirect_call, or(0, .L_ZN12_GLOBAL__N_17runRingI14__hip_fp8_e5m210FuncMinMaxIS1_E7ProtoLLLi0ELi4ELi0EEEviiP15ncclDevWorkColl.has_indirect_call)
	.section	.AMDGPU.csdata,"",@progbits
; Function info:
; codeLenInByte = 684
; TotalNumSgprs: 60
; NumVgprs: 120
; ScratchSize: 116
; MemoryBound: 0
	.text
	.p2alignl 7, 3214868480
	.fill 96, 4, 3214868480
	.section	.AMDGPU.gpr_maximums,"",@progbits
	.set amdgpu.max_num_vgpr, 120
	.set amdgpu.max_num_agpr, 0
	.set amdgpu.max_num_sgpr, 58
	.text
	.type	__hip_cuid_f5facfc74ad20cd9,@object ; @__hip_cuid_f5facfc74ad20cd9
	.section	.bss,"aw",@nobits
	.globl	__hip_cuid_f5facfc74ad20cd9
__hip_cuid_f5facfc74ad20cd9:
	.byte	0                               ; 0x0
	.size	__hip_cuid_f5facfc74ad20cd9, 1

	.ident	"AMD clang version 22.0.0git (https://github.com/RadeonOpenCompute/llvm-project roc-7.2.4 26084 f58b06dce1f9c15707c5f808fd002e18c2accf7e)"
	.section	".note.GNU-stack","",@progbits
	.addrsig
	.addrsig_sym _Z53ncclDevFunc_ReduceScatter_RING_LL_MinMax_f8e5m2_0_0_1v
	.addrsig_sym _Z53ncclDevFunc_ReduceScatter_RING_LL_MinMax_f8e5m2_0_0_2v
	.addrsig_sym _Z53ncclDevFunc_ReduceScatter_RING_LL_MinMax_f8e5m2_0_0_4v
	.addrsig_sym ncclShmem
	.addrsig_sym __hip_cuid_f5facfc74ad20cd9
	.amdgpu_metadata
---
amdhsa.kernels:  []
amdhsa.target:   amdgcn-amd-amdhsa--gfx1250
amdhsa.version:
  - 1
  - 2
...

	.end_amdgpu_metadata
